;; amdgpu-corpus repo=LLNL/RAJAPerf kind=compiled arch=gfx1100 opt=O3
	.text
	.amdgcn_target "amdgcn-amd-amdhsa--gfx1100"
	.amdhsa_code_object_version 6
	.section	.text._ZN8rajaperf4apps17intsc_hexrect_hipILm64EEEvPdS2_S2_PiPcS3_S3_lS2_,"axG",@progbits,_ZN8rajaperf4apps17intsc_hexrect_hipILm64EEEvPdS2_S2_PiPcS3_S3_lS2_,comdat
	.protected	_ZN8rajaperf4apps17intsc_hexrect_hipILm64EEEvPdS2_S2_PiPcS3_S3_lS2_ ; -- Begin function _ZN8rajaperf4apps17intsc_hexrect_hipILm64EEEvPdS2_S2_PiPcS3_S3_lS2_
	.globl	_ZN8rajaperf4apps17intsc_hexrect_hipILm64EEEvPdS2_S2_PiPcS3_S3_lS2_
	.p2align	8
	.type	_ZN8rajaperf4apps17intsc_hexrect_hipILm64EEEvPdS2_S2_PiPcS3_S3_lS2_,@function
_ZN8rajaperf4apps17intsc_hexrect_hipILm64EEEvPdS2_S2_PiPcS3_S3_lS2_: ; @_ZN8rajaperf4apps17intsc_hexrect_hipILm64EEEvPdS2_S2_PiPcS3_S3_lS2_
; %bb.0:
	s_mov_b32 s20, s15
	s_load_b512 s[4:19], s[0:1], 0x0
	s_mov_b32 s21, 0
	s_delay_alu instid0(SALU_CYCLE_1) | instskip(NEXT) | instid1(SALU_CYCLE_1)
	s_lshl_b64 s[2:3], s[20:21], 6
	v_or_b32_e32 v29, s2, v0
	v_mov_b32_e32 v30, s3
	s_mov_b32 s2, exec_lo
	s_waitcnt lgkmcnt(0)
	s_delay_alu instid0(VALU_DEP_1)
	v_cmpx_gt_i64_e64 s[18:19], v[29:30]
	s_cbranch_execz .LBB0_500
; %bb.1:
	v_lshlrev_b64 v[1:2], 2, v[29:30]
	v_add_nc_u32_e64 v65, 0xf0, 64
	s_delay_alu instid0(VALU_DEP_2) | instskip(NEXT) | instid1(VALU_DEP_3)
	v_add_co_u32 v3, vcc_lo, s16, v1
	v_add_co_ci_u32_e32 v4, vcc_lo, s17, v2, vcc_lo
	v_add_co_u32 v1, vcc_lo, s14, v1
	v_add_co_ci_u32_e32 v2, vcc_lo, s15, v2, vcc_lo
	global_load_b32 v23, v[3:4], off
	global_load_b32 v9, v[1:2], off
	s_clause 0x2
	s_load_b64 s[2:3], s[12:13], 0x4
	s_load_b128 s[16:19], s[12:13], 0x10
	s_load_b64 s[12:13], s[12:13], 0x20
	s_waitcnt lgkmcnt(0)
	s_abs_i32 s14, s3
	s_delay_alu instid0(SALU_CYCLE_1) | instskip(SKIP_1) | instid1(VALU_DEP_1)
	v_cvt_f32_u32_e32 v1, s14
	s_sub_i32 s15, 0, s14
	v_rcp_iflag_f32_e32 v1, v1
	s_waitcnt_depctr 0xfff
	v_mul_f32_e32 v1, 0x4f7ffffe, v1
	s_delay_alu instid0(VALU_DEP_1) | instskip(NEXT) | instid1(VALU_DEP_1)
	v_cvt_u32_f32_e32 v1, v1
	v_mul_lo_u32 v2, s15, v1
	s_abs_i32 s15, s2
	s_mul_i32 s2, s3, s2
	s_delay_alu instid0(VALU_DEP_1) | instskip(NEXT) | instid1(VALU_DEP_1)
	v_mul_hi_u32 v2, v1, v2
	v_add_nc_u32_e32 v1, v1, v2
	s_waitcnt vmcnt(1)
	v_sub_nc_u32_e32 v3, 0, v23
	s_waitcnt vmcnt(0)
	v_lshlrev_b32_e32 v9, 3, v9
	s_delay_alu instid0(VALU_DEP_2) | instskip(SKIP_1) | instid1(VALU_DEP_3)
	v_max_i32_e32 v24, v23, v3
	v_cvt_f32_u32_e32 v3, s15
	v_ashrrev_i32_e32 v10, 31, v9
	s_delay_alu instid0(VALU_DEP_3) | instskip(NEXT) | instid1(VALU_DEP_3)
	v_mul_hi_u32 v1, v24, v1
	v_rcp_iflag_f32_e32 v3, v3
	s_delay_alu instid0(VALU_DEP_2) | instskip(NEXT) | instid1(VALU_DEP_2)
	v_lshlrev_b64 v[9:10], 2, v[9:10]
	v_mul_lo_u32 v2, v1, s14
	s_waitcnt_depctr 0xfff
	v_dual_mul_f32 v3, 0x4f7ffffe, v3 :: v_dual_add_nc_u32 v4, 1, v1
	s_delay_alu instid0(VALU_DEP_1) | instskip(SKIP_1) | instid1(VALU_DEP_1)
	v_cvt_u32_f32_e32 v3, v3
	v_sub_nc_u32_e32 v2, v24, v2
	v_subrev_nc_u32_e32 v5, s14, v2
	v_cmp_le_u32_e32 vcc_lo, s14, v2
	s_delay_alu instid0(VALU_DEP_2) | instskip(SKIP_1) | instid1(VALU_DEP_2)
	v_dual_cndmask_b32 v1, v1, v4 :: v_dual_cndmask_b32 v2, v2, v5
	v_xor_b32_e32 v4, s3, v23
	v_add_nc_u32_e32 v5, 1, v1
	s_delay_alu instid0(VALU_DEP_3) | instskip(NEXT) | instid1(VALU_DEP_3)
	v_cmp_le_u32_e32 vcc_lo, s14, v2
	v_ashrrev_i32_e32 v4, 31, v4
	s_sub_i32 s14, 0, s15
	s_delay_alu instid0(SALU_CYCLE_1) | instskip(SKIP_1) | instid1(VALU_DEP_1)
	v_mul_lo_u32 v2, s14, v3
	v_cndmask_b32_e32 v1, v1, v5, vcc_lo
	v_xor_b32_e32 v1, v1, v4
	s_delay_alu instid0(VALU_DEP_3) | instskip(NEXT) | instid1(VALU_DEP_2)
	v_mul_hi_u32 v2, v3, v2
	v_sub_nc_u32_e32 v1, v1, v4
	s_delay_alu instid0(VALU_DEP_1) | instskip(NEXT) | instid1(VALU_DEP_3)
	v_sub_nc_u32_e32 v4, 0, v1
	v_add_nc_u32_e32 v2, v3, v2
	s_delay_alu instid0(VALU_DEP_2) | instskip(SKIP_3) | instid1(VALU_DEP_3)
	v_max_i32_e32 v3, v1, v4
	v_ashrrev_i32_e32 v4, 31, v1
	v_mul_lo_u32 v1, v1, s3
	s_abs_i32 s3, s2
	v_mul_hi_u32 v2, v3, v2
	s_delay_alu instid0(VALU_DEP_2) | instskip(NEXT) | instid1(VALU_DEP_2)
	v_sub_nc_u32_e32 v1, v23, v1
	v_mul_lo_u32 v2, v2, s15
	s_delay_alu instid0(VALU_DEP_1) | instskip(NEXT) | instid1(VALU_DEP_1)
	v_sub_nc_u32_e32 v2, v3, v2
	v_subrev_nc_u32_e32 v3, s15, v2
	v_cmp_le_u32_e32 vcc_lo, s15, v2
	s_delay_alu instid0(VALU_DEP_2) | instskip(NEXT) | instid1(VALU_DEP_1)
	v_cndmask_b32_e32 v2, v2, v3, vcc_lo
	v_subrev_nc_u32_e32 v3, s15, v2
	v_cmp_le_u32_e32 vcc_lo, s15, v2
	s_mov_b64 s[14:15], 0
	s_delay_alu instid0(VALU_DEP_2) | instskip(NEXT) | instid1(VALU_DEP_1)
	v_cndmask_b32_e32 v2, v2, v3, vcc_lo
	v_xor_b32_e32 v2, v2, v4
	s_delay_alu instid0(VALU_DEP_1) | instskip(SKIP_1) | instid1(VALU_DEP_2)
	v_sub_nc_u32_e32 v3, v2, v4
	v_ashrrev_i32_e32 v2, 31, v1
	v_ashrrev_i32_e32 v4, 31, v3
	s_delay_alu instid0(VALU_DEP_2) | instskip(NEXT) | instid1(VALU_DEP_2)
	v_lshlrev_b64 v[1:2], 3, v[1:2]
	v_lshlrev_b64 v[3:4], 3, v[3:4]
	s_delay_alu instid0(VALU_DEP_2) | instskip(NEXT) | instid1(VALU_DEP_3)
	v_add_co_u32 v1, vcc_lo, s12, v1
	v_add_co_ci_u32_e32 v2, vcc_lo, s13, v2, vcc_lo
	s_delay_alu instid0(VALU_DEP_3) | instskip(NEXT) | instid1(VALU_DEP_4)
	v_add_co_u32 v5, vcc_lo, s18, v3
	v_add_co_ci_u32_e32 v6, vcc_lo, s19, v4, vcc_lo
	global_load_b128 v[1:4], v[1:2], off
	global_load_b128 v[5:8], v[5:6], off
	v_add_co_u32 v9, vcc_lo, s10, v9
	v_add_co_ci_u32_e32 v10, vcc_lo, s11, v10, vcc_lo
	s_clause 0x1
	global_load_b128 v[15:18], v[9:10], off
	global_load_b128 v[19:22], v[9:10], off offset:16
	v_cvt_f32_u32_e32 v9, s3
	s_sub_i32 s10, 0, s3
	s_delay_alu instid0(VALU_DEP_1) | instskip(SKIP_2) | instid1(VALU_DEP_1)
	v_rcp_iflag_f32_e32 v9, v9
	s_waitcnt_depctr 0xfff
	v_mul_f32_e32 v9, 0x4f7ffffe, v9
	v_cvt_u32_f32_e32 v9, v9
	s_delay_alu instid0(VALU_DEP_1) | instskip(NEXT) | instid1(VALU_DEP_1)
	v_mul_lo_u32 v10, s10, v9
	v_mul_hi_u32 v10, v9, v10
	s_delay_alu instid0(VALU_DEP_1) | instskip(NEXT) | instid1(VALU_DEP_1)
	v_add_nc_u32_e32 v9, v9, v10
	v_mul_hi_u32 v9, v24, v9
	s_waitcnt vmcnt(3)
	v_add_f64 v[11:12], v[3:4], -v[1:2]
	s_waitcnt vmcnt(2)
	v_add_f64 v[13:14], v[7:8], -v[5:6]
	s_delay_alu instid0(VALU_DEP_3) | instskip(SKIP_1) | instid1(VALU_DEP_1)
	v_mul_lo_u32 v3, v9, s3
	v_xor_b32_e32 v8, s2, v23
	v_ashrrev_i32_e32 v8, 31, v8
	s_waitcnt vmcnt(1)
	v_ashrrev_i32_e32 v26, 31, v16
	s_delay_alu instid0(VALU_DEP_4)
	v_sub_nc_u32_e32 v3, v24, v3
	v_ashrrev_i32_e32 v24, 31, v15
	v_mov_b32_e32 v23, v15
	v_mov_b32_e32 v25, v16
	v_ashrrev_i32_e32 v16, 31, v17
	v_subrev_nc_u32_e32 v7, s3, v3
	v_cmp_le_u32_e32 vcc_lo, s3, v3
	v_dual_mov_b32 v15, v17 :: v_dual_add_nc_u32 v4, 1, v9
	v_ashrrev_i32_e32 v28, 31, v18
	v_mov_b32_e32 v27, v18
	s_delay_alu instid0(VALU_DEP_3)
	v_dual_cndmask_b32 v3, v3, v7 :: v_dual_cndmask_b32 v4, v9, v4
	s_waitcnt vmcnt(0)
	v_ashrrev_i32_e32 v18, 31, v19
	v_mov_b32_e32 v17, v19
	v_ashrrev_i32_e32 v32, 31, v20
	v_cmp_le_u32_e32 vcc_lo, s3, v3
	v_add_nc_u32_e32 v7, 1, v4
	s_mov_b32 s2, 0x174d6123
	s_mov_b32 s3, 0x2f52f8ac
	v_mov_b32_e32 v31, v20
	v_ashrrev_i32_e32 v20, 31, v21
	v_cndmask_b32_e32 v3, v4, v7, vcc_lo
	v_mov_b32_e32 v19, v21
	v_ashrrev_i32_e32 v36, 31, v22
	v_mov_b32_e32 v35, v22
	v_lshlrev_b64 v[21:22], 3, v[23:24]
	v_xor_b32_e32 v7, v3, v8
	v_lshlrev_b64 v[23:24], 3, v[25:26]
	v_mul_f64 v[3:4], v[11:12], v[13:14]
	v_lshlrev_b64 v[25:26], 3, v[27:28]
	v_lshlrev_b64 v[27:28], 3, v[31:32]
	v_sub_nc_u32_e32 v7, v7, v8
	v_lshlrev_b64 v[31:32], 3, v[35:36]
	v_lshlrev_b64 v[15:16], 3, v[15:16]
	;; [unrolled: 1-line block ×4, first 2 shown]
	v_ashrrev_i32_e32 v8, 31, v7
	s_delay_alu instid0(VALU_DEP_1) | instskip(NEXT) | instid1(VALU_DEP_1)
	v_lshlrev_b64 v[7:8], 3, v[7:8]
	v_add_co_u32 v7, vcc_lo, s16, v7
	s_delay_alu instid0(VALU_DEP_2)
	v_add_co_ci_u32_e32 v8, vcc_lo, s17, v8, vcc_lo
	v_add_co_u32 v35, vcc_lo, s4, v21
	v_add_co_ci_u32_e32 v36, vcc_lo, s5, v22, vcc_lo
	v_add_co_u32 v37, vcc_lo, s6, v21
	;; [unrolled: 2-line block ×4, first 2 shown]
	v_add_co_ci_u32_e32 v40, vcc_lo, s5, v24, vcc_lo
	v_fma_f64 v[33:34], v[3:4], v[3:4], s[2:3]
	v_add_co_u32 v41, vcc_lo, s6, v23
	v_add_co_ci_u32_e32 v42, vcc_lo, s7, v24, vcc_lo
	v_add_co_u32 v43, vcc_lo, s8, v23
	v_add_co_ci_u32_e32 v44, vcc_lo, s9, v24, vcc_lo
	;; [unrolled: 2-line block ×6, first 2 shown]
	global_load_b128 v[7:10], v[7:8], off
	v_add_co_u32 v53, vcc_lo, s6, v25
	v_add_co_ci_u32_e32 v54, vcc_lo, s7, v26, vcc_lo
	v_add_co_u32 v57, vcc_lo, s8, v25
	v_add_co_ci_u32_e32 v58, vcc_lo, s9, v26, vcc_lo
	;; [unrolled: 2-line block ×3, first 2 shown]
	v_div_scale_f64 v[55:56], null, v[33:34], v[33:34], v[3:4]
	v_add_co_u32 v61, vcc_lo, s6, v17
	v_add_co_ci_u32_e32 v62, vcc_lo, s7, v18, vcc_lo
	v_add_co_u32 v63, vcc_lo, s8, v17
	v_add_co_ci_u32_e32 v64, vcc_lo, s9, v18, vcc_lo
	;; [unrolled: 2-line block ×9, first 2 shown]
	v_rcp_f64_e32 v[82:83], v[55:56]
	v_add_co_u32 v80, vcc_lo, s6, v31
	v_add_co_ci_u32_e32 v81, vcc_lo, s7, v32, vcc_lo
	global_load_b64 v[15:16], v[35:36], off
	global_load_b64 v[19:20], v[37:38], off
	;; [unrolled: 1-line block ×9, first 2 shown]
	v_add_co_u32 v31, vcc_lo, s8, v31
	v_add_co_ci_u32_e32 v32, vcc_lo, s9, v32, vcc_lo
	global_load_b64 v[37:38], v[51:52], off
	global_load_b64 v[41:42], v[53:54], off
	;; [unrolled: 1-line block ×8, first 2 shown]
	s_clause 0x1
	global_load_b64 v[70:71], v[72:73], off
	global_load_b64 v[72:73], v[76:77], off
	s_clause 0x1
	global_load_b64 v[74:75], v[74:75], off
	global_load_b64 v[76:77], v[80:81], off
	;; [unrolled: 3-line block ×3, first 2 shown]
	global_load_b64 v[80:81], v[31:32], off
	v_div_scale_f64 v[57:58], vcc_lo, v[3:4], v[33:34], v[3:4]
	v_add_nc_u32_e64 v59, 0xf0, 16
	v_add_nc_u32_e64 v60, 0xf0, 48
	v_or_b32_e64 v61, 0xf0, 8
	v_add_nc_u32_e64 v62, 0xf0, 24
	v_add_nc_u32_e64 v63, 0xf0, 32
	;; [unrolled: 1-line block ×3, first 2 shown]
	s_waitcnt vmcnt(20)
	scratch_store_b128 off, v[15:18], off offset:240
	s_waitcnt vmcnt(14)
	s_clause 0x1
	scratch_store_b128 off, v[35:38], off offset:256
	scratch_store_b128 off, v[19:22], off offset:304
	s_waitcnt vmcnt(13)
	s_clause 0x1
	scratch_store_b128 off, v[39:42], off offset:320
	scratch_store_b128 off, v[23:26], off offset:368
	s_waitcnt vmcnt(12)
	scratch_store_b128 off, v[43:46], off offset:384
	s_waitcnt vmcnt(8)
	;; [unrolled: 2-line block ×3, first 2 shown]
	s_clause 0x1
	scratch_store_b128 off, v[70:73], off offset:288
	scratch_store_b128 off, v[51:54], off offset:336
	s_waitcnt vmcnt(3)
	scratch_store_b128 off, v[74:77], off offset:352
	v_fma_f64 v[84:85], -v[55:56], v[82:83], 1.0
	v_mov_b32_e32 v39, 8
	s_waitcnt vmcnt(2)
	scratch_store_b128 off, v[66:69], off offset:400
	s_waitcnt vmcnt(0)
	scratch_store_b128 off, v[78:81], off offset:416
	v_fma_f64 v[27:28], v[82:83], v[84:85], v[82:83]
	s_delay_alu instid0(VALU_DEP_1) | instskip(NEXT) | instid1(VALU_DEP_1)
	v_fma_f64 v[31:32], -v[55:56], v[27:28], 1.0
	v_fma_f64 v[27:28], v[27:28], v[31:32], v[27:28]
	s_delay_alu instid0(VALU_DEP_1) | instskip(NEXT) | instid1(VALU_DEP_1)
	v_mul_f64 v[31:32], v[57:58], v[27:28]
	v_fma_f64 v[55:56], -v[55:56], v[31:32], v[57:58]
	v_add_nc_u32_e64 v58, 0xf0, 40
	s_delay_alu instid0(VALU_DEP_2)
	v_div_fmas_f64 v[27:28], v[55:56], v[27:28], v[31:32]
	v_add_f64 v[55:56], v[9:10], -v[7:8]
	v_cmp_gt_f64_e32 vcc_lo, v[9:10], v[7:8]
	v_mov_b32_e32 v9, 0
	s_clause 0x2
	scratch_store_b32 off, v9, off offset:8
	scratch_store_b32 off, v9, off offset:4
	scratch_store_b32 off, v9, off
	v_div_fixup_f64 v[27:28], v[27:28], v[33:34], v[3:4]
	v_dual_cndmask_b32 v36, 0, v56 :: v_dual_cndmask_b32 v35, 0, v55
	s_delay_alu instid0(VALU_DEP_2)
	v_mul_f64 v[33:34], v[13:14], v[27:28]
	v_mul_f64 v[31:32], v[11:12], v[27:28]
	s_branch .LBB0_5
.LBB0_2:                                ;   in Loop: Header=BB0_5 Depth=1
	s_or_b32 exec_lo, exec_lo, s8
.LBB0_3:                                ;   in Loop: Header=BB0_5 Depth=1
	s_delay_alu instid0(SALU_CYCLE_1)
	s_or_b32 exec_lo, exec_lo, s7
	scratch_load_b32 v10, v9, off
	s_waitcnt vmcnt(0)
	v_lshl_or_b32 v10, 8, s21, v10
	scratch_store_b32 v9, v10, off
.LBB0_4:                                ;   in Loop: Header=BB0_5 Depth=1
	s_or_b32 exec_lo, exec_lo, s13
	s_add_i32 s21, s21, 4
	s_add_u32 s14, s14, 1
	s_addc_u32 s15, s15, 0
	s_delay_alu instid0(SALU_CYCLE_1)
	s_cmp_lg_u64 s[14:15], 6
	s_cbranch_scc0 .LBB0_127
.LBB0_5:                                ; =>This Inner Loop Header: Depth=1
	s_cmp_lt_i32 s14, 2
	s_cbranch_scc1 .LBB0_10
; %bb.6:                                ;   in Loop: Header=BB0_5 Depth=1
	s_cmp_gt_i32 s14, 2
	s_cbranch_scc0 .LBB0_11
; %bb.7:                                ;   in Loop: Header=BB0_5 Depth=1
	s_cmp_gt_i32 s14, 3
	s_cbranch_scc0 .LBB0_12
; %bb.8:                                ;   in Loop: Header=BB0_5 Depth=1
	s_cmp_eq_u32 s14, 4
	s_cbranch_scc0 .LBB0_13
; %bb.9:                                ;   in Loop: Header=BB0_5 Depth=1
	v_mov_b32_e32 v9, 0xf0
	s_mov_b32 s2, 0
	s_mov_b32 s7, 0
	;; [unrolled: 1-line block ×5, first 2 shown]
	s_branch .LBB0_14
.LBB0_10:                               ;   in Loop: Header=BB0_5 Depth=1
	s_mov_b32 s2, 0
                                        ; implicit-def: $sgpr4
                                        ; implicit-def: $vgpr10
                                        ; implicit-def: $sgpr5
                                        ; implicit-def: $vgpr15
                                        ; implicit-def: $sgpr6
                                        ; implicit-def: $vgpr16
                                        ; implicit-def: $sgpr7
                                        ; implicit-def: $vgpr9
	s_cbranch_execnz .LBB0_19
	s_branch .LBB0_24
.LBB0_11:                               ;   in Loop: Header=BB0_5 Depth=1
	s_mov_b32 s2, 0
                                        ; implicit-def: $sgpr4
                                        ; implicit-def: $vgpr10
                                        ; implicit-def: $sgpr5
                                        ; implicit-def: $vgpr15
                                        ; implicit-def: $sgpr6
                                        ; implicit-def: $vgpr16
                                        ; implicit-def: $sgpr7
                                        ; implicit-def: $vgpr9
	s_cbranch_execnz .LBB0_17
	s_branch .LBB0_18
.LBB0_12:                               ;   in Loop: Header=BB0_5 Depth=1
	s_mov_b32 s2, 0
                                        ; implicit-def: $sgpr4
                                        ; implicit-def: $vgpr10
                                        ; implicit-def: $sgpr5
                                        ; implicit-def: $vgpr15
                                        ; implicit-def: $sgpr6
                                        ; implicit-def: $vgpr16
                                        ; implicit-def: $sgpr7
                                        ; implicit-def: $vgpr9
	s_cbranch_execnz .LBB0_15
	s_branch .LBB0_16
.LBB0_13:                               ;   in Loop: Header=BB0_5 Depth=1
	s_mov_b32 s2, -1
                                        ; implicit-def: $sgpr4
                                        ; implicit-def: $sgpr5
                                        ; implicit-def: $sgpr6
                                        ; implicit-def: $sgpr7
                                        ; implicit-def: $vgpr9
.LBB0_14:                               ;   in Loop: Header=BB0_5 Depth=1
	v_dual_mov_b32 v10, v59 :: v_dual_mov_b32 v15, v62
	v_mov_b32_e32 v16, v61
	s_branch .LBB0_16
.LBB0_15:                               ;   in Loop: Header=BB0_5 Depth=1
	s_mov_b32 s7, 2
	v_dual_mov_b32 v10, v60 :: v_dual_mov_b32 v9, v59
	v_dual_mov_b32 v15, v64 :: v_dual_mov_b32 v16, v62
	s_mov_b32 s6, 3
	s_mov_b32 s5, 7
	;; [unrolled: 1-line block ×3, first 2 shown]
.LBB0_16:                               ;   in Loop: Header=BB0_5 Depth=1
	s_branch .LBB0_18
.LBB0_17:                               ;   in Loop: Header=BB0_5 Depth=1
	v_dual_mov_b32 v9, 0xf0 :: v_dual_mov_b32 v10, v61
	v_dual_mov_b32 v15, v58 :: v_dual_mov_b32 v16, v63
	s_mov_b32 s7, 0
	s_mov_b32 s6, 4
	;; [unrolled: 1-line block ×4, first 2 shown]
.LBB0_18:                               ;   in Loop: Header=BB0_5 Depth=1
	s_branch .LBB0_24
.LBB0_19:                               ;   in Loop: Header=BB0_5 Depth=1
	s_cmp_gt_i32 s14, 0
	s_cbranch_scc0 .LBB0_21
; %bb.20:                               ;   in Loop: Header=BB0_5 Depth=1
	s_mov_b32 s3, 0
	s_mov_b32 s7, 1
	;; [unrolled: 1-line block ×5, first 2 shown]
	s_branch .LBB0_22
.LBB0_21:                               ;   in Loop: Header=BB0_5 Depth=1
	s_mov_b32 s3, -1
                                        ; implicit-def: $sgpr4
                                        ; implicit-def: $sgpr5
                                        ; implicit-def: $sgpr6
                                        ; implicit-def: $sgpr7
.LBB0_22:                               ;   in Loop: Header=BB0_5 Depth=1
	v_dual_mov_b32 v10, v62 :: v_dual_mov_b32 v15, v64
	v_dual_mov_b32 v16, v58 :: v_dual_mov_b32 v9, v61
	s_and_not1_b32 vcc_lo, exec_lo, s3
	s_cbranch_vccnz .LBB0_24
; %bb.23:                               ;   in Loop: Header=BB0_5 Depth=1
	v_dual_mov_b32 v9, 0xf0 :: v_dual_mov_b32 v10, v63
	v_dual_mov_b32 v15, v60 :: v_dual_mov_b32 v16, v59
	s_cmp_lg_u32 s14, 0
	s_mov_b32 s6, 2
	s_mov_b32 s5, 6
	;; [unrolled: 1-line block ×3, first 2 shown]
	s_cselect_b32 s2, -1, 0
	s_mov_b32 s7, s14
.LBB0_24:                               ;   in Loop: Header=BB0_5 Depth=1
	s_and_b32 vcc_lo, exec_lo, s2
	s_cbranch_vccz .LBB0_26
; %bb.25:                               ;   in Loop: Header=BB0_5 Depth=1
	v_dual_mov_b32 v9, v63 :: v_dual_mov_b32 v16, v60
	v_dual_mov_b32 v15, v64 :: v_dual_mov_b32 v10, v58
	s_mov_b32 s4, 5
	s_mov_b32 s5, 7
	;; [unrolled: 1-line block ×4, first 2 shown]
.LBB0_26:                               ;   in Loop: Header=BB0_5 Depth=1
	scratch_load_b64 v[17:18], v9, off
	scratch_load_b64 v[19:20], v16, off
	;; [unrolled: 1-line block ×4, first 2 shown]
	s_waitcnt vmcnt(2)
	v_add_f64 v[21:22], v[17:18], v[19:20]
	v_add_f64 v[19:20], v[19:20], -v[1:2]
	s_waitcnt vmcnt(1)
	s_delay_alu instid0(VALU_DEP_2) | instskip(SKIP_1) | instid1(VALU_DEP_1)
	v_add_f64 v[15:16], v[21:22], v[15:16]
	s_waitcnt vmcnt(0)
	v_add_f64 v[9:10], v[15:16], v[9:10]
	v_add_f64 v[15:16], v[17:18], -v[1:2]
	s_delay_alu instid0(VALU_DEP_2) | instskip(NEXT) | instid1(VALU_DEP_2)
	v_fma_f64 v[9:10], 0x3fd00000, v[9:10], -v[1:2]
	v_mul_f64 v[17:18], v[33:34], v[15:16]
	s_delay_alu instid0(VALU_DEP_2) | instskip(SKIP_1) | instid1(VALU_DEP_3)
	v_mul_f64 v[15:16], v[33:34], v[9:10]
	v_mul_f64 v[9:10], v[33:34], v[19:20]
	v_cmp_ngt_f64_e32 vcc_lo, 0, v[17:18]
	s_delay_alu instid0(VALU_DEP_3) | instskip(NEXT) | instid1(VALU_DEP_3)
	v_cmp_ngt_f64_e64 s2, 0, v[15:16]
	v_cmp_ngt_f64_e64 s3, 0, v[9:10]
	s_delay_alu instid0(VALU_DEP_2)
	s_or_b32 s2, vcc_lo, s2
	s_delay_alu instid0(VALU_DEP_1) | instid1(SALU_CYCLE_1)
	s_or_b32 s2, s2, s3
	s_delay_alu instid0(SALU_CYCLE_1)
	s_and_saveexec_b32 s13, s2
	s_cbranch_execz .LBB0_36
; %bb.27:                               ;   in Loop: Header=BB0_5 Depth=1
	v_cmp_nle_f64_e32 vcc_lo, 1.0, v[17:18]
	v_cmp_nle_f64_e64 s2, 1.0, v[15:16]
	v_cmp_nle_f64_e64 s3, 1.0, v[9:10]
	s_delay_alu instid0(VALU_DEP_2)
	s_or_b32 s2, vcc_lo, s2
	s_delay_alu instid0(VALU_DEP_1) | instid1(SALU_CYCLE_1)
	s_or_b32 s2, s2, s3
	s_delay_alu instid0(SALU_CYCLE_1)
	s_and_b32 exec_lo, exec_lo, s2
	s_cbranch_execz .LBB0_36
; %bb.28:                               ;   in Loop: Header=BB0_5 Depth=1
	s_lshl_b32 s2, s7, 3
	s_lshl_b32 s6, s6, 3
	v_add_nc_u32_e64 v19, 0xf0, s2
	s_add_i32 s2, s6, 0xf0
	s_lshl_b32 s5, s5, 3
	s_lshl_b32 s4, s4, 3
	s_delay_alu instid0(VALU_DEP_1)
	v_add_nc_u32_e32 v20, 64, v19
	s_clause 0x1
	scratch_load_b64 v[20:21], v20, off
	scratch_load_b64 v[22:23], off, s2 offset:64
	s_add_i32 s2, s5, 0xf0
	scratch_load_b64 v[24:25], off, s2 offset:64
	s_add_i32 s2, s4, 0xf0
	scratch_load_b64 v[26:27], off, s2 offset:64
	s_waitcnt vmcnt(2)
	v_add_f64 v[37:38], v[20:21], v[22:23]
	v_add_f64 v[20:21], v[20:21], -v[5:6]
	v_add_f64 v[22:23], v[22:23], -v[5:6]
	s_waitcnt vmcnt(1)
	s_delay_alu instid0(VALU_DEP_3) | instskip(NEXT) | instid1(VALU_DEP_3)
	v_add_f64 v[24:25], v[37:38], v[24:25]
	v_mul_f64 v[37:38], v[31:32], v[20:21]
	s_waitcnt vmcnt(0)
	s_delay_alu instid0(VALU_DEP_2) | instskip(NEXT) | instid1(VALU_DEP_2)
	v_add_f64 v[24:25], v[24:25], v[26:27]
	v_cmp_ngt_f64_e32 vcc_lo, 0, v[37:38]
	s_delay_alu instid0(VALU_DEP_2) | instskip(NEXT) | instid1(VALU_DEP_1)
	v_fma_f64 v[24:25], 0x3fd00000, v[24:25], -v[5:6]
	v_mul_f64 v[27:28], v[31:32], v[24:25]
	v_mul_f64 v[25:26], v[31:32], v[22:23]
	s_delay_alu instid0(VALU_DEP_2) | instskip(NEXT) | instid1(VALU_DEP_2)
	v_cmp_ngt_f64_e64 s2, 0, v[27:28]
	v_cmp_ngt_f64_e64 s3, 0, v[25:26]
	s_delay_alu instid0(VALU_DEP_2)
	s_or_b32 s2, vcc_lo, s2
	s_delay_alu instid0(VALU_DEP_1) | instid1(SALU_CYCLE_1)
	s_or_b32 s2, s2, s3
	s_delay_alu instid0(SALU_CYCLE_1)
	s_and_b32 exec_lo, exec_lo, s2
	s_cbranch_execz .LBB0_36
; %bb.29:                               ;   in Loop: Header=BB0_5 Depth=1
	v_cmp_nle_f64_e32 vcc_lo, 1.0, v[37:38]
	v_cmp_nle_f64_e64 s2, 1.0, v[27:28]
	v_cmp_nle_f64_e64 s3, 1.0, v[25:26]
	s_delay_alu instid0(VALU_DEP_2)
	s_or_b32 s2, vcc_lo, s2
	s_delay_alu instid0(VALU_DEP_1) | instid1(SALU_CYCLE_1)
	s_or_b32 s2, s2, s3
	s_delay_alu instid0(SALU_CYCLE_1)
	s_and_b32 exec_lo, exec_lo, s2
	s_cbranch_execz .LBB0_36
; %bb.30:                               ;   in Loop: Header=BB0_5 Depth=1
	v_add_nc_u32_e32 v19, 0x80, v19
	v_add_nc_u32_e64 v21, 0xf0, s6
	v_add_nc_u32_e64 v23, 0xf0, s4
	s_clause 0x1
	scratch_load_b64 v[19:20], v19, off
	scratch_load_b64 v[40:41], v21, off offset:128
	v_add_nc_u32_e64 v21, 0xf0, s5
	s_clause 0x1
	scratch_load_b64 v[23:24], v23, off offset:128
	scratch_load_b64 v[21:22], v21, off offset:128
	s_waitcnt vmcnt(2)
	v_add_f64 v[42:43], v[19:20], v[40:41]
	s_waitcnt vmcnt(0)
	s_delay_alu instid0(VALU_DEP_1) | instskip(NEXT) | instid1(VALU_DEP_1)
	v_add_f64 v[21:22], v[42:43], v[21:22]
	v_add_f64 v[21:22], v[21:22], v[23:24]
	v_add_f64 v[23:24], v[19:20], -v[7:8]
	v_add_f64 v[19:20], v[40:41], -v[7:8]
	s_delay_alu instid0(VALU_DEP_3) | instskip(NEXT) | instid1(VALU_DEP_3)
	v_fma_f64 v[21:22], 0x3fd00000, v[21:22], -v[7:8]
	v_cmp_ngt_f64_e32 vcc_lo, 0, v[23:24]
	s_delay_alu instid0(VALU_DEP_3) | instskip(NEXT) | instid1(VALU_DEP_3)
	v_cmp_ngt_f64_e64 s3, 0, v[19:20]
	v_cmp_ngt_f64_e64 s2, 0, v[21:22]
	s_delay_alu instid0(VALU_DEP_1)
	s_or_b32 s2, vcc_lo, s2
	s_delay_alu instid0(VALU_DEP_2) | instid1(SALU_CYCLE_1)
	s_or_b32 s2, s2, s3
	s_delay_alu instid0(SALU_CYCLE_1)
	s_and_b32 exec_lo, exec_lo, s2
	s_cbranch_execz .LBB0_36
; %bb.31:                               ;   in Loop: Header=BB0_5 Depth=1
	v_cmp_le_f64_e32 vcc_lo, 0, v[17:18]
	v_cmp_le_f64_e64 s2, 0, v[15:16]
	v_cmp_le_f64_e64 s3, 0, v[9:10]
	v_cmp_gt_f64_e64 s4, 1.0, v[17:18]
	v_cmp_gt_f64_e64 s5, 1.0, v[15:16]
	;; [unrolled: 1-line block ×3, first 2 shown]
	v_cmp_le_f64_e64 s7, 0, v[37:38]
	v_cmp_le_f64_e64 s8, 0, v[27:28]
	;; [unrolled: 1-line block ×3, first 2 shown]
	v_cmp_gt_f64_e64 s10, 1.0, v[37:38]
	v_cmp_gt_f64_e64 s11, 1.0, v[27:28]
	;; [unrolled: 1-line block ×3, first 2 shown]
	v_mov_b32_e32 v9, 8
	s_and_b32 s2, vcc_lo, s2
	s_delay_alu instid0(SALU_CYCLE_1) | instskip(NEXT) | instid1(SALU_CYCLE_1)
	s_and_b32 s2, s2, s3
	s_and_b32 s2, s4, s2
	s_delay_alu instid0(SALU_CYCLE_1) | instskip(NEXT) | instid1(SALU_CYCLE_1)
	s_and_b32 s2, s2, s5
	s_and_b32 s2, s2, s6
	;; [unrolled: 3-line block ×3, first 2 shown]
	s_delay_alu instid0(SALU_CYCLE_1)
	s_and_b32 s2, s2, s9
	s_delay_alu instid0(VALU_DEP_4) | instid1(SALU_CYCLE_1)
	s_and_b32 s2, s10, s2
	s_delay_alu instid0(VALU_DEP_3) | instid1(SALU_CYCLE_1)
	s_and_b32 s2, s2, s11
	s_delay_alu instid0(VALU_DEP_2) | instid1(SALU_CYCLE_1)
	s_and_b32 s2, s2, s12
	s_delay_alu instid0(SALU_CYCLE_1)
	s_and_saveexec_b32 s7, s2
	s_cbranch_execz .LBB0_35
; %bb.32:                               ;   in Loop: Header=BB0_5 Depth=1
	v_cmp_nge_f64_e32 vcc_lo, v[23:24], v[35:36]
	v_cmp_nge_f64_e64 s2, v[21:22], v[35:36]
	v_cmp_nge_f64_e64 s3, v[19:20], v[35:36]
	v_mov_b32_e32 v9, 4
	s_delay_alu instid0(VALU_DEP_3)
	s_or_b32 s2, vcc_lo, s2
	s_delay_alu instid0(VALU_DEP_2) | instid1(SALU_CYCLE_1)
	s_or_b32 s2, s2, s3
	s_delay_alu instid0(SALU_CYCLE_1)
	s_and_saveexec_b32 s8, s2
	s_cbranch_execz .LBB0_34
; %bb.33:                               ;   in Loop: Header=BB0_5 Depth=1
	v_cmp_le_f64_e32 vcc_lo, 0, v[23:24]
	v_cmp_le_f64_e64 s2, 0, v[21:22]
	v_cmp_le_f64_e64 s3, 0, v[19:20]
	v_cmp_lt_f64_e64 s4, v[23:24], v[35:36]
	v_cmp_lt_f64_e64 s5, v[21:22], v[35:36]
	;; [unrolled: 1-line block ×3, first 2 shown]
	s_and_b32 s2, vcc_lo, s2
	s_delay_alu instid0(VALU_DEP_4) | instid1(SALU_CYCLE_1)
	s_and_b32 s2, s2, s3
	s_delay_alu instid0(VALU_DEP_3) | instid1(SALU_CYCLE_1)
	s_and_b32 s2, s4, s2
	s_delay_alu instid0(VALU_DEP_2) | instid1(SALU_CYCLE_1)
	s_and_b32 s2, s2, s5
	s_delay_alu instid0(VALU_DEP_1) | instid1(SALU_CYCLE_1)
	s_and_b32 s2, s2, s6
	s_delay_alu instid0(SALU_CYCLE_1)
	v_cndmask_b32_e64 v9, v39, 0, s2
.LBB0_34:                               ;   in Loop: Header=BB0_5 Depth=1
	s_or_b32 exec_lo, exec_lo, s8
.LBB0_35:                               ;   in Loop: Header=BB0_5 Depth=1
	s_delay_alu instid0(SALU_CYCLE_1)
	s_or_b32 exec_lo, exec_lo, s7
	scratch_load_b32 v10, v9, off
	s_waitcnt vmcnt(0)
	v_lshl_or_b32 v10, 1, s21, v10
	scratch_store_b32 v9, v10, off
.LBB0_36:                               ;   in Loop: Header=BB0_5 Depth=1
	s_or_b32 exec_lo, exec_lo, s13
	s_cmp_lt_i32 s14, 2
	s_cbranch_scc1 .LBB0_41
; %bb.37:                               ;   in Loop: Header=BB0_5 Depth=1
	s_cmp_gt_i32 s14, 2
	s_cbranch_scc0 .LBB0_42
; %bb.38:                               ;   in Loop: Header=BB0_5 Depth=1
	s_cmp_gt_i32 s14, 3
	s_cbranch_scc0 .LBB0_43
; %bb.39:                               ;   in Loop: Header=BB0_5 Depth=1
	s_cmp_eq_u32 s14, 4
	s_cbranch_scc0 .LBB0_44
; %bb.40:                               ;   in Loop: Header=BB0_5 Depth=1
	v_mov_b32_e32 v9, 0xf0
	s_mov_b32 s2, 0
	s_mov_b32 s7, 0
	;; [unrolled: 1-line block ×5, first 2 shown]
	s_branch .LBB0_45
.LBB0_41:                               ;   in Loop: Header=BB0_5 Depth=1
	s_mov_b32 s2, 0
                                        ; implicit-def: $sgpr4
                                        ; implicit-def: $vgpr10
                                        ; implicit-def: $sgpr5
                                        ; implicit-def: $vgpr15
                                        ; implicit-def: $sgpr6
                                        ; implicit-def: $vgpr16
                                        ; implicit-def: $sgpr7
                                        ; implicit-def: $vgpr9
	s_cbranch_execnz .LBB0_50
	s_branch .LBB0_55
.LBB0_42:                               ;   in Loop: Header=BB0_5 Depth=1
	s_mov_b32 s2, 0
                                        ; implicit-def: $sgpr4
                                        ; implicit-def: $vgpr10
                                        ; implicit-def: $sgpr5
                                        ; implicit-def: $vgpr15
                                        ; implicit-def: $sgpr6
                                        ; implicit-def: $vgpr16
                                        ; implicit-def: $sgpr7
                                        ; implicit-def: $vgpr9
	s_cbranch_execnz .LBB0_48
	s_branch .LBB0_49
.LBB0_43:                               ;   in Loop: Header=BB0_5 Depth=1
	s_mov_b32 s2, 0
                                        ; implicit-def: $sgpr4
                                        ; implicit-def: $vgpr10
                                        ; implicit-def: $sgpr5
                                        ; implicit-def: $vgpr15
                                        ; implicit-def: $sgpr6
                                        ; implicit-def: $vgpr16
                                        ; implicit-def: $sgpr7
                                        ; implicit-def: $vgpr9
	s_cbranch_execnz .LBB0_46
	s_branch .LBB0_47
.LBB0_44:                               ;   in Loop: Header=BB0_5 Depth=1
	s_mov_b32 s2, -1
                                        ; implicit-def: $sgpr4
                                        ; implicit-def: $sgpr5
                                        ; implicit-def: $sgpr6
                                        ; implicit-def: $sgpr7
                                        ; implicit-def: $vgpr9
.LBB0_45:                               ;   in Loop: Header=BB0_5 Depth=1
	v_dual_mov_b32 v10, v59 :: v_dual_mov_b32 v15, v62
	v_mov_b32_e32 v16, v61
	s_branch .LBB0_47
.LBB0_46:                               ;   in Loop: Header=BB0_5 Depth=1
	v_dual_mov_b32 v10, v60 :: v_dual_mov_b32 v9, v59
	v_dual_mov_b32 v15, v64 :: v_dual_mov_b32 v16, v62
	s_mov_b32 s7, 2
	s_mov_b32 s6, 3
	s_mov_b32 s5, 7
	s_mov_b32 s4, 6
.LBB0_47:                               ;   in Loop: Header=BB0_5 Depth=1
	s_branch .LBB0_49
.LBB0_48:                               ;   in Loop: Header=BB0_5 Depth=1
	v_dual_mov_b32 v9, 0xf0 :: v_dual_mov_b32 v10, v61
	v_dual_mov_b32 v15, v58 :: v_dual_mov_b32 v16, v63
	s_mov_b32 s7, 0
	s_mov_b32 s6, 4
	;; [unrolled: 1-line block ×4, first 2 shown]
.LBB0_49:                               ;   in Loop: Header=BB0_5 Depth=1
	s_branch .LBB0_55
.LBB0_50:                               ;   in Loop: Header=BB0_5 Depth=1
	s_cmp_gt_i32 s14, 0
	s_cbranch_scc0 .LBB0_52
; %bb.51:                               ;   in Loop: Header=BB0_5 Depth=1
	s_mov_b32 s3, 0
	s_mov_b32 s7, 1
	;; [unrolled: 1-line block ×5, first 2 shown]
	s_branch .LBB0_53
.LBB0_52:                               ;   in Loop: Header=BB0_5 Depth=1
	s_mov_b32 s3, -1
                                        ; implicit-def: $sgpr4
                                        ; implicit-def: $sgpr5
                                        ; implicit-def: $sgpr6
                                        ; implicit-def: $sgpr7
.LBB0_53:                               ;   in Loop: Header=BB0_5 Depth=1
	v_dual_mov_b32 v10, v62 :: v_dual_mov_b32 v15, v64
	v_dual_mov_b32 v16, v58 :: v_dual_mov_b32 v9, v61
	s_and_not1_b32 vcc_lo, exec_lo, s3
	s_cbranch_vccnz .LBB0_55
; %bb.54:                               ;   in Loop: Header=BB0_5 Depth=1
	v_dual_mov_b32 v9, 0xf0 :: v_dual_mov_b32 v10, v63
	v_dual_mov_b32 v15, v60 :: v_dual_mov_b32 v16, v59
	s_cmp_lg_u32 s14, 0
	s_mov_b32 s6, 2
	s_mov_b32 s5, 6
	;; [unrolled: 1-line block ×3, first 2 shown]
	s_cselect_b32 s2, -1, 0
	s_mov_b32 s7, s14
.LBB0_55:                               ;   in Loop: Header=BB0_5 Depth=1
	s_and_b32 vcc_lo, exec_lo, s2
	s_cbranch_vccz .LBB0_57
; %bb.56:                               ;   in Loop: Header=BB0_5 Depth=1
	v_dual_mov_b32 v9, v63 :: v_dual_mov_b32 v16, v60
	v_dual_mov_b32 v15, v64 :: v_dual_mov_b32 v10, v58
	s_mov_b32 s4, 5
	s_mov_b32 s5, 7
	;; [unrolled: 1-line block ×4, first 2 shown]
.LBB0_57:                               ;   in Loop: Header=BB0_5 Depth=1
	scratch_load_b64 v[17:18], v9, off
	scratch_load_b64 v[19:20], v16, off
	;; [unrolled: 1-line block ×4, first 2 shown]
	s_waitcnt vmcnt(2)
	v_add_f64 v[17:18], v[17:18], v[19:20]
	s_waitcnt vmcnt(1)
	s_delay_alu instid0(VALU_DEP_1) | instskip(SKIP_1) | instid1(VALU_DEP_1)
	v_add_f64 v[17:18], v[17:18], v[15:16]
	s_waitcnt vmcnt(0)
	v_add_f64 v[9:10], v[17:18], v[9:10]
	v_add_f64 v[17:18], v[19:20], -v[1:2]
	v_add_f64 v[19:20], v[15:16], -v[1:2]
	s_delay_alu instid0(VALU_DEP_3) | instskip(NEXT) | instid1(VALU_DEP_3)
	v_fma_f64 v[9:10], 0x3fd00000, v[9:10], -v[1:2]
	v_mul_f64 v[17:18], v[33:34], v[17:18]
	s_delay_alu instid0(VALU_DEP_2) | instskip(NEXT) | instid1(VALU_DEP_4)
	v_mul_f64 v[15:16], v[33:34], v[9:10]
	v_mul_f64 v[9:10], v[33:34], v[19:20]
	s_delay_alu instid0(VALU_DEP_3) | instskip(NEXT) | instid1(VALU_DEP_3)
	v_cmp_ngt_f64_e32 vcc_lo, 0, v[17:18]
	v_cmp_ngt_f64_e64 s2, 0, v[15:16]
	s_delay_alu instid0(VALU_DEP_3) | instskip(NEXT) | instid1(VALU_DEP_2)
	v_cmp_ngt_f64_e64 s3, 0, v[9:10]
	s_or_b32 s2, vcc_lo, s2
	s_delay_alu instid0(VALU_DEP_1) | instid1(SALU_CYCLE_1)
	s_or_b32 s2, s2, s3
	s_delay_alu instid0(SALU_CYCLE_1)
	s_and_saveexec_b32 s13, s2
	s_cbranch_execz .LBB0_67
; %bb.58:                               ;   in Loop: Header=BB0_5 Depth=1
	v_cmp_nle_f64_e32 vcc_lo, 1.0, v[17:18]
	v_cmp_nle_f64_e64 s2, 1.0, v[15:16]
	v_cmp_nle_f64_e64 s3, 1.0, v[9:10]
	s_delay_alu instid0(VALU_DEP_2)
	s_or_b32 s2, vcc_lo, s2
	s_delay_alu instid0(VALU_DEP_1) | instid1(SALU_CYCLE_1)
	s_or_b32 s2, s2, s3
	s_delay_alu instid0(SALU_CYCLE_1)
	s_and_b32 exec_lo, exec_lo, s2
	s_cbranch_execz .LBB0_67
; %bb.59:                               ;   in Loop: Header=BB0_5 Depth=1
	s_lshl_b32 s2, s7, 3
	s_lshl_b32 s6, s6, 3
	v_add_nc_u32_e64 v19, 0xf0, s2
	s_add_i32 s2, s6, 0xf0
	s_lshl_b32 s5, s5, 3
	s_lshl_b32 s4, s4, 3
	s_delay_alu instid0(VALU_DEP_1)
	v_add_nc_u32_e32 v20, 64, v19
	s_clause 0x1
	scratch_load_b64 v[20:21], v20, off
	scratch_load_b64 v[22:23], off, s2 offset:64
	s_add_i32 s2, s5, 0xf0
	scratch_load_b64 v[24:25], off, s2 offset:64
	s_add_i32 s2, s4, 0xf0
	scratch_load_b64 v[26:27], off, s2 offset:64
	s_waitcnt vmcnt(2)
	v_add_f64 v[20:21], v[20:21], v[22:23]
	v_add_f64 v[22:23], v[22:23], -v[5:6]
	s_waitcnt vmcnt(1)
	s_delay_alu instid0(VALU_DEP_2) | instskip(SKIP_1) | instid1(VALU_DEP_3)
	v_add_f64 v[20:21], v[20:21], v[24:25]
	v_add_f64 v[24:25], v[24:25], -v[5:6]
	v_mul_f64 v[37:38], v[31:32], v[22:23]
	s_waitcnt vmcnt(0)
	s_delay_alu instid0(VALU_DEP_3) | instskip(NEXT) | instid1(VALU_DEP_3)
	v_add_f64 v[20:21], v[20:21], v[26:27]
	v_mul_f64 v[25:26], v[31:32], v[24:25]
	s_delay_alu instid0(VALU_DEP_3) | instskip(NEXT) | instid1(VALU_DEP_3)
	v_cmp_ngt_f64_e32 vcc_lo, 0, v[37:38]
	v_fma_f64 v[20:21], 0x3fd00000, v[20:21], -v[5:6]
	s_delay_alu instid0(VALU_DEP_3) | instskip(NEXT) | instid1(VALU_DEP_2)
	v_cmp_ngt_f64_e64 s3, 0, v[25:26]
	v_mul_f64 v[27:28], v[31:32], v[20:21]
	s_delay_alu instid0(VALU_DEP_1) | instskip(NEXT) | instid1(VALU_DEP_1)
	v_cmp_ngt_f64_e64 s2, 0, v[27:28]
	s_or_b32 s2, vcc_lo, s2
	s_delay_alu instid0(VALU_DEP_3) | instid1(SALU_CYCLE_1)
	s_or_b32 s2, s2, s3
	s_delay_alu instid0(SALU_CYCLE_1)
	s_and_b32 exec_lo, exec_lo, s2
	s_cbranch_execz .LBB0_67
; %bb.60:                               ;   in Loop: Header=BB0_5 Depth=1
	v_cmp_nle_f64_e32 vcc_lo, 1.0, v[37:38]
	v_cmp_nle_f64_e64 s2, 1.0, v[27:28]
	v_cmp_nle_f64_e64 s3, 1.0, v[25:26]
	s_delay_alu instid0(VALU_DEP_2)
	s_or_b32 s2, vcc_lo, s2
	s_delay_alu instid0(VALU_DEP_1) | instid1(SALU_CYCLE_1)
	s_or_b32 s2, s2, s3
	s_delay_alu instid0(SALU_CYCLE_1)
	s_and_b32 exec_lo, exec_lo, s2
	s_cbranch_execz .LBB0_67
; %bb.61:                               ;   in Loop: Header=BB0_5 Depth=1
	v_add_nc_u32_e32 v19, 0x80, v19
	v_add_nc_u32_e64 v21, 0xf0, s6
	v_add_nc_u32_e64 v23, 0xf0, s5
	s_clause 0x2
	scratch_load_b64 v[19:20], v19, off
	scratch_load_b64 v[21:22], v21, off offset:128
	scratch_load_b64 v[40:41], v23, off offset:128
	v_add_nc_u32_e64 v23, 0xf0, s4
	scratch_load_b64 v[23:24], v23, off offset:128
	s_waitcnt vmcnt(2)
	v_add_f64 v[19:20], v[19:20], v[21:22]
	s_waitcnt vmcnt(1)
	s_delay_alu instid0(VALU_DEP_1) | instskip(SKIP_1) | instid1(VALU_DEP_1)
	v_add_f64 v[19:20], v[19:20], v[40:41]
	s_waitcnt vmcnt(0)
	v_add_f64 v[19:20], v[19:20], v[23:24]
	v_add_f64 v[23:24], v[21:22], -v[7:8]
	s_delay_alu instid0(VALU_DEP_2) | instskip(SKIP_1) | instid1(VALU_DEP_3)
	v_fma_f64 v[21:22], 0x3fd00000, v[19:20], -v[7:8]
	v_add_f64 v[19:20], v[40:41], -v[7:8]
	v_cmp_ngt_f64_e32 vcc_lo, 0, v[23:24]
	s_delay_alu instid0(VALU_DEP_3) | instskip(NEXT) | instid1(VALU_DEP_3)
	v_cmp_ngt_f64_e64 s2, 0, v[21:22]
	v_cmp_ngt_f64_e64 s3, 0, v[19:20]
	s_delay_alu instid0(VALU_DEP_2)
	s_or_b32 s2, vcc_lo, s2
	s_delay_alu instid0(VALU_DEP_1) | instid1(SALU_CYCLE_1)
	s_or_b32 s2, s2, s3
	s_delay_alu instid0(SALU_CYCLE_1)
	s_and_b32 exec_lo, exec_lo, s2
	s_cbranch_execz .LBB0_67
; %bb.62:                               ;   in Loop: Header=BB0_5 Depth=1
	v_cmp_le_f64_e32 vcc_lo, 0, v[17:18]
	v_cmp_le_f64_e64 s2, 0, v[15:16]
	v_cmp_le_f64_e64 s3, 0, v[9:10]
	v_cmp_gt_f64_e64 s4, 1.0, v[17:18]
	v_cmp_gt_f64_e64 s5, 1.0, v[15:16]
	;; [unrolled: 1-line block ×3, first 2 shown]
	v_cmp_le_f64_e64 s7, 0, v[37:38]
	v_cmp_le_f64_e64 s8, 0, v[27:28]
	;; [unrolled: 1-line block ×3, first 2 shown]
	v_cmp_gt_f64_e64 s10, 1.0, v[37:38]
	v_cmp_gt_f64_e64 s11, 1.0, v[27:28]
	;; [unrolled: 1-line block ×3, first 2 shown]
	v_mov_b32_e32 v9, 8
	s_and_b32 s2, vcc_lo, s2
	s_delay_alu instid0(SALU_CYCLE_1) | instskip(NEXT) | instid1(SALU_CYCLE_1)
	s_and_b32 s2, s2, s3
	s_and_b32 s2, s4, s2
	s_delay_alu instid0(SALU_CYCLE_1) | instskip(NEXT) | instid1(SALU_CYCLE_1)
	s_and_b32 s2, s2, s5
	s_and_b32 s2, s2, s6
	;; [unrolled: 3-line block ×3, first 2 shown]
	s_delay_alu instid0(SALU_CYCLE_1)
	s_and_b32 s2, s2, s9
	s_delay_alu instid0(VALU_DEP_4) | instid1(SALU_CYCLE_1)
	s_and_b32 s2, s10, s2
	s_delay_alu instid0(VALU_DEP_3) | instid1(SALU_CYCLE_1)
	s_and_b32 s2, s2, s11
	s_delay_alu instid0(VALU_DEP_2) | instid1(SALU_CYCLE_1)
	s_and_b32 s2, s2, s12
	s_delay_alu instid0(SALU_CYCLE_1)
	s_and_saveexec_b32 s7, s2
	s_cbranch_execz .LBB0_66
; %bb.63:                               ;   in Loop: Header=BB0_5 Depth=1
	v_cmp_nge_f64_e32 vcc_lo, v[23:24], v[35:36]
	v_cmp_nge_f64_e64 s2, v[21:22], v[35:36]
	v_cmp_nge_f64_e64 s3, v[19:20], v[35:36]
	v_mov_b32_e32 v9, 4
	s_delay_alu instid0(VALU_DEP_3)
	s_or_b32 s2, vcc_lo, s2
	s_delay_alu instid0(VALU_DEP_2) | instid1(SALU_CYCLE_1)
	s_or_b32 s2, s2, s3
	s_delay_alu instid0(SALU_CYCLE_1)
	s_and_saveexec_b32 s8, s2
	s_cbranch_execz .LBB0_65
; %bb.64:                               ;   in Loop: Header=BB0_5 Depth=1
	v_cmp_le_f64_e32 vcc_lo, 0, v[23:24]
	v_cmp_le_f64_e64 s2, 0, v[21:22]
	v_cmp_le_f64_e64 s3, 0, v[19:20]
	v_cmp_lt_f64_e64 s4, v[23:24], v[35:36]
	v_cmp_lt_f64_e64 s5, v[21:22], v[35:36]
	;; [unrolled: 1-line block ×3, first 2 shown]
	s_and_b32 s2, vcc_lo, s2
	s_delay_alu instid0(VALU_DEP_4) | instid1(SALU_CYCLE_1)
	s_and_b32 s2, s2, s3
	s_delay_alu instid0(VALU_DEP_3) | instid1(SALU_CYCLE_1)
	s_and_b32 s2, s4, s2
	s_delay_alu instid0(VALU_DEP_2) | instid1(SALU_CYCLE_1)
	s_and_b32 s2, s2, s5
	s_delay_alu instid0(VALU_DEP_1) | instid1(SALU_CYCLE_1)
	s_and_b32 s2, s2, s6
	s_delay_alu instid0(SALU_CYCLE_1)
	v_cndmask_b32_e64 v9, v39, 0, s2
.LBB0_65:                               ;   in Loop: Header=BB0_5 Depth=1
	s_or_b32 exec_lo, exec_lo, s8
.LBB0_66:                               ;   in Loop: Header=BB0_5 Depth=1
	s_delay_alu instid0(SALU_CYCLE_1)
	s_or_b32 exec_lo, exec_lo, s7
	scratch_load_b32 v10, v9, off
	s_waitcnt vmcnt(0)
	v_lshl_or_b32 v10, 2, s21, v10
	scratch_store_b32 v9, v10, off
.LBB0_67:                               ;   in Loop: Header=BB0_5 Depth=1
	s_or_b32 exec_lo, exec_lo, s13
	s_cmp_lt_i32 s14, 2
	s_cbranch_scc1 .LBB0_72
; %bb.68:                               ;   in Loop: Header=BB0_5 Depth=1
	s_cmp_gt_i32 s14, 2
	s_cbranch_scc0 .LBB0_73
; %bb.69:                               ;   in Loop: Header=BB0_5 Depth=1
	s_cmp_gt_i32 s14, 3
	s_cbranch_scc0 .LBB0_74
; %bb.70:                               ;   in Loop: Header=BB0_5 Depth=1
	s_cmp_eq_u32 s14, 4
	s_cbranch_scc0 .LBB0_75
; %bb.71:                               ;   in Loop: Header=BB0_5 Depth=1
	v_mov_b32_e32 v9, 0xf0
	s_mov_b32 s2, 0
	s_mov_b32 s7, 0
	;; [unrolled: 1-line block ×5, first 2 shown]
	s_branch .LBB0_76
.LBB0_72:                               ;   in Loop: Header=BB0_5 Depth=1
	s_mov_b32 s2, 0
                                        ; implicit-def: $sgpr4
                                        ; implicit-def: $vgpr10
                                        ; implicit-def: $sgpr5
                                        ; implicit-def: $vgpr15
                                        ; implicit-def: $sgpr6
                                        ; implicit-def: $vgpr16
                                        ; implicit-def: $sgpr7
                                        ; implicit-def: $vgpr9
	s_cbranch_execnz .LBB0_81
	s_branch .LBB0_86
.LBB0_73:                               ;   in Loop: Header=BB0_5 Depth=1
	s_mov_b32 s2, 0
                                        ; implicit-def: $sgpr4
                                        ; implicit-def: $vgpr10
                                        ; implicit-def: $sgpr5
                                        ; implicit-def: $vgpr15
                                        ; implicit-def: $sgpr6
                                        ; implicit-def: $vgpr16
                                        ; implicit-def: $sgpr7
                                        ; implicit-def: $vgpr9
	s_cbranch_execnz .LBB0_79
	s_branch .LBB0_80
.LBB0_74:                               ;   in Loop: Header=BB0_5 Depth=1
	s_mov_b32 s2, 0
                                        ; implicit-def: $sgpr4
                                        ; implicit-def: $vgpr10
                                        ; implicit-def: $sgpr5
                                        ; implicit-def: $vgpr15
                                        ; implicit-def: $sgpr6
                                        ; implicit-def: $vgpr16
                                        ; implicit-def: $sgpr7
                                        ; implicit-def: $vgpr9
	s_cbranch_execnz .LBB0_77
	s_branch .LBB0_78
.LBB0_75:                               ;   in Loop: Header=BB0_5 Depth=1
	s_mov_b32 s2, -1
                                        ; implicit-def: $sgpr4
                                        ; implicit-def: $sgpr5
                                        ; implicit-def: $sgpr6
                                        ; implicit-def: $sgpr7
                                        ; implicit-def: $vgpr9
.LBB0_76:                               ;   in Loop: Header=BB0_5 Depth=1
	v_dual_mov_b32 v10, v59 :: v_dual_mov_b32 v15, v62
	v_mov_b32_e32 v16, v61
	s_branch .LBB0_78
.LBB0_77:                               ;   in Loop: Header=BB0_5 Depth=1
	v_dual_mov_b32 v10, v60 :: v_dual_mov_b32 v9, v59
	v_dual_mov_b32 v15, v64 :: v_dual_mov_b32 v16, v62
	s_mov_b32 s7, 2
	s_mov_b32 s6, 3
	;; [unrolled: 1-line block ×4, first 2 shown]
.LBB0_78:                               ;   in Loop: Header=BB0_5 Depth=1
	s_branch .LBB0_80
.LBB0_79:                               ;   in Loop: Header=BB0_5 Depth=1
	v_dual_mov_b32 v9, 0xf0 :: v_dual_mov_b32 v10, v61
	v_dual_mov_b32 v15, v58 :: v_dual_mov_b32 v16, v63
	s_mov_b32 s7, 0
	s_mov_b32 s6, 4
	;; [unrolled: 1-line block ×4, first 2 shown]
.LBB0_80:                               ;   in Loop: Header=BB0_5 Depth=1
	s_branch .LBB0_86
.LBB0_81:                               ;   in Loop: Header=BB0_5 Depth=1
	s_cmp_gt_i32 s14, 0
	s_cbranch_scc0 .LBB0_83
; %bb.82:                               ;   in Loop: Header=BB0_5 Depth=1
	s_mov_b32 s3, 0
	s_mov_b32 s7, 1
	;; [unrolled: 1-line block ×5, first 2 shown]
	s_branch .LBB0_84
.LBB0_83:                               ;   in Loop: Header=BB0_5 Depth=1
	s_mov_b32 s3, -1
                                        ; implicit-def: $sgpr4
                                        ; implicit-def: $sgpr5
                                        ; implicit-def: $sgpr6
                                        ; implicit-def: $sgpr7
.LBB0_84:                               ;   in Loop: Header=BB0_5 Depth=1
	v_dual_mov_b32 v10, v62 :: v_dual_mov_b32 v15, v64
	v_dual_mov_b32 v16, v58 :: v_dual_mov_b32 v9, v61
	s_and_not1_b32 vcc_lo, exec_lo, s3
	s_cbranch_vccnz .LBB0_86
; %bb.85:                               ;   in Loop: Header=BB0_5 Depth=1
	v_dual_mov_b32 v9, 0xf0 :: v_dual_mov_b32 v10, v63
	v_dual_mov_b32 v15, v60 :: v_dual_mov_b32 v16, v59
	s_cmp_lg_u32 s14, 0
	s_mov_b32 s6, 2
	s_mov_b32 s5, 6
	;; [unrolled: 1-line block ×3, first 2 shown]
	s_cselect_b32 s2, -1, 0
	s_mov_b32 s7, s14
.LBB0_86:                               ;   in Loop: Header=BB0_5 Depth=1
	s_and_b32 vcc_lo, exec_lo, s2
	s_cbranch_vccz .LBB0_88
; %bb.87:                               ;   in Loop: Header=BB0_5 Depth=1
	v_dual_mov_b32 v9, v63 :: v_dual_mov_b32 v16, v60
	v_dual_mov_b32 v15, v64 :: v_dual_mov_b32 v10, v58
	s_mov_b32 s4, 5
	s_mov_b32 s5, 7
	;; [unrolled: 1-line block ×4, first 2 shown]
.LBB0_88:                               ;   in Loop: Header=BB0_5 Depth=1
	scratch_load_b64 v[17:18], v9, off
	scratch_load_b64 v[19:20], v16, off
	;; [unrolled: 1-line block ×4, first 2 shown]
	s_waitcnt vmcnt(2)
	v_add_f64 v[17:18], v[17:18], v[19:20]
	s_waitcnt vmcnt(1)
	s_delay_alu instid0(VALU_DEP_1) | instskip(SKIP_2) | instid1(VALU_DEP_2)
	v_add_f64 v[17:18], v[17:18], v[15:16]
	v_add_f64 v[15:16], v[15:16], -v[1:2]
	s_waitcnt vmcnt(0)
	v_add_f64 v[17:18], v[17:18], v[9:10]
	v_add_f64 v[9:10], v[9:10], -v[1:2]
	s_delay_alu instid0(VALU_DEP_2) | instskip(NEXT) | instid1(VALU_DEP_4)
	v_fma_f64 v[19:20], 0x3fd00000, v[17:18], -v[1:2]
	v_mul_f64 v[17:18], v[33:34], v[15:16]
	s_delay_alu instid0(VALU_DEP_3) | instskip(NEXT) | instid1(VALU_DEP_3)
	v_mul_f64 v[9:10], v[33:34], v[9:10]
	v_mul_f64 v[15:16], v[33:34], v[19:20]
	s_delay_alu instid0(VALU_DEP_3) | instskip(NEXT) | instid1(VALU_DEP_3)
	v_cmp_ngt_f64_e32 vcc_lo, 0, v[17:18]
	v_cmp_ngt_f64_e64 s3, 0, v[9:10]
	s_delay_alu instid0(VALU_DEP_3) | instskip(NEXT) | instid1(VALU_DEP_1)
	v_cmp_ngt_f64_e64 s2, 0, v[15:16]
	s_or_b32 s2, vcc_lo, s2
	s_delay_alu instid0(VALU_DEP_2) | instid1(SALU_CYCLE_1)
	s_or_b32 s2, s2, s3
	s_delay_alu instid0(SALU_CYCLE_1)
	s_and_saveexec_b32 s13, s2
	s_cbranch_execz .LBB0_98
; %bb.89:                               ;   in Loop: Header=BB0_5 Depth=1
	v_cmp_nle_f64_e32 vcc_lo, 1.0, v[17:18]
	v_cmp_nle_f64_e64 s2, 1.0, v[15:16]
	v_cmp_nle_f64_e64 s3, 1.0, v[9:10]
	s_delay_alu instid0(VALU_DEP_2)
	s_or_b32 s2, vcc_lo, s2
	s_delay_alu instid0(VALU_DEP_1) | instid1(SALU_CYCLE_1)
	s_or_b32 s2, s2, s3
	s_delay_alu instid0(SALU_CYCLE_1)
	s_and_b32 exec_lo, exec_lo, s2
	s_cbranch_execz .LBB0_98
; %bb.90:                               ;   in Loop: Header=BB0_5 Depth=1
	s_lshl_b32 s2, s7, 3
	s_lshl_b32 s6, s6, 3
	v_add_nc_u32_e64 v19, 0xf0, s2
	s_add_i32 s2, s6, 0xf0
	s_lshl_b32 s5, s5, 3
	s_lshl_b32 s4, s4, 3
	s_delay_alu instid0(VALU_DEP_1)
	v_add_nc_u32_e32 v20, 64, v19
	s_clause 0x1
	scratch_load_b64 v[20:21], v20, off
	scratch_load_b64 v[22:23], off, s2 offset:64
	s_add_i32 s2, s5, 0xf0
	scratch_load_b64 v[24:25], off, s2 offset:64
	s_add_i32 s2, s4, 0xf0
	scratch_load_b64 v[26:27], off, s2 offset:64
	s_waitcnt vmcnt(2)
	v_add_f64 v[20:21], v[20:21], v[22:23]
	s_waitcnt vmcnt(1)
	v_add_f64 v[22:23], v[24:25], -v[5:6]
	s_delay_alu instid0(VALU_DEP_2) | instskip(SKIP_2) | instid1(VALU_DEP_3)
	v_add_f64 v[20:21], v[20:21], v[24:25]
	s_waitcnt vmcnt(0)
	v_add_f64 v[24:25], v[26:27], -v[5:6]
	v_mul_f64 v[37:38], v[31:32], v[22:23]
	s_delay_alu instid0(VALU_DEP_3) | instskip(NEXT) | instid1(VALU_DEP_3)
	v_add_f64 v[20:21], v[20:21], v[26:27]
	v_mul_f64 v[25:26], v[31:32], v[24:25]
	s_delay_alu instid0(VALU_DEP_3) | instskip(NEXT) | instid1(VALU_DEP_3)
	v_cmp_ngt_f64_e32 vcc_lo, 0, v[37:38]
	v_fma_f64 v[20:21], 0x3fd00000, v[20:21], -v[5:6]
	s_delay_alu instid0(VALU_DEP_3) | instskip(NEXT) | instid1(VALU_DEP_2)
	v_cmp_ngt_f64_e64 s3, 0, v[25:26]
	v_mul_f64 v[27:28], v[31:32], v[20:21]
	s_delay_alu instid0(VALU_DEP_1) | instskip(NEXT) | instid1(VALU_DEP_1)
	v_cmp_ngt_f64_e64 s2, 0, v[27:28]
	s_or_b32 s2, vcc_lo, s2
	s_delay_alu instid0(VALU_DEP_3) | instid1(SALU_CYCLE_1)
	s_or_b32 s2, s2, s3
	s_delay_alu instid0(SALU_CYCLE_1)
	s_and_b32 exec_lo, exec_lo, s2
	s_cbranch_execz .LBB0_98
; %bb.91:                               ;   in Loop: Header=BB0_5 Depth=1
	v_cmp_nle_f64_e32 vcc_lo, 1.0, v[37:38]
	v_cmp_nle_f64_e64 s2, 1.0, v[27:28]
	v_cmp_nle_f64_e64 s3, 1.0, v[25:26]
	s_delay_alu instid0(VALU_DEP_2)
	s_or_b32 s2, vcc_lo, s2
	s_delay_alu instid0(VALU_DEP_1) | instid1(SALU_CYCLE_1)
	s_or_b32 s2, s2, s3
	s_delay_alu instid0(SALU_CYCLE_1)
	s_and_b32 exec_lo, exec_lo, s2
	s_cbranch_execz .LBB0_98
; %bb.92:                               ;   in Loop: Header=BB0_5 Depth=1
	v_add_nc_u32_e32 v19, 0x80, v19
	v_add_nc_u32_e64 v21, 0xf0, s6
	v_add_nc_u32_e64 v23, 0xf0, s5
	;; [unrolled: 1-line block ×3, first 2 shown]
	s_clause 0x3
	scratch_load_b64 v[19:20], v19, off
	scratch_load_b64 v[21:22], v21, off offset:128
	scratch_load_b64 v[23:24], v23, off offset:128
	;; [unrolled: 1-line block ×3, first 2 shown]
	s_waitcnt vmcnt(2)
	v_add_f64 v[19:20], v[19:20], v[21:22]
	s_waitcnt vmcnt(1)
	s_delay_alu instid0(VALU_DEP_1) | instskip(SKIP_2) | instid1(VALU_DEP_2)
	v_add_f64 v[19:20], v[19:20], v[23:24]
	v_add_f64 v[23:24], v[23:24], -v[7:8]
	s_waitcnt vmcnt(0)
	v_add_f64 v[19:20], v[19:20], v[40:41]
	s_delay_alu instid0(VALU_DEP_2) | instskip(NEXT) | instid1(VALU_DEP_2)
	v_cmp_ngt_f64_e32 vcc_lo, 0, v[23:24]
	v_fma_f64 v[21:22], 0x3fd00000, v[19:20], -v[7:8]
	v_add_f64 v[19:20], v[40:41], -v[7:8]
	s_delay_alu instid0(VALU_DEP_2) | instskip(NEXT) | instid1(VALU_DEP_2)
	v_cmp_ngt_f64_e64 s2, 0, v[21:22]
	v_cmp_ngt_f64_e64 s3, 0, v[19:20]
	s_delay_alu instid0(VALU_DEP_2)
	s_or_b32 s2, vcc_lo, s2
	s_delay_alu instid0(VALU_DEP_1) | instid1(SALU_CYCLE_1)
	s_or_b32 s2, s2, s3
	s_delay_alu instid0(SALU_CYCLE_1)
	s_and_b32 exec_lo, exec_lo, s2
	s_cbranch_execz .LBB0_98
; %bb.93:                               ;   in Loop: Header=BB0_5 Depth=1
	v_cmp_le_f64_e32 vcc_lo, 0, v[17:18]
	v_cmp_le_f64_e64 s2, 0, v[15:16]
	v_cmp_le_f64_e64 s3, 0, v[9:10]
	v_cmp_gt_f64_e64 s4, 1.0, v[17:18]
	v_cmp_gt_f64_e64 s5, 1.0, v[15:16]
	;; [unrolled: 1-line block ×3, first 2 shown]
	v_cmp_le_f64_e64 s7, 0, v[37:38]
	v_cmp_le_f64_e64 s8, 0, v[27:28]
	v_cmp_le_f64_e64 s9, 0, v[25:26]
	v_cmp_gt_f64_e64 s10, 1.0, v[37:38]
	v_cmp_gt_f64_e64 s11, 1.0, v[27:28]
	v_cmp_gt_f64_e64 s12, 1.0, v[25:26]
	v_mov_b32_e32 v9, 8
	s_and_b32 s2, vcc_lo, s2
	s_delay_alu instid0(SALU_CYCLE_1) | instskip(NEXT) | instid1(SALU_CYCLE_1)
	s_and_b32 s2, s2, s3
	s_and_b32 s2, s4, s2
	s_delay_alu instid0(SALU_CYCLE_1) | instskip(NEXT) | instid1(SALU_CYCLE_1)
	s_and_b32 s2, s2, s5
	s_and_b32 s2, s2, s6
	;; [unrolled: 3-line block ×3, first 2 shown]
	s_delay_alu instid0(SALU_CYCLE_1)
	s_and_b32 s2, s2, s9
	s_delay_alu instid0(VALU_DEP_4) | instid1(SALU_CYCLE_1)
	s_and_b32 s2, s10, s2
	s_delay_alu instid0(VALU_DEP_3) | instid1(SALU_CYCLE_1)
	s_and_b32 s2, s2, s11
	s_delay_alu instid0(VALU_DEP_2) | instid1(SALU_CYCLE_1)
	s_and_b32 s2, s2, s12
	s_delay_alu instid0(SALU_CYCLE_1)
	s_and_saveexec_b32 s7, s2
	s_cbranch_execz .LBB0_97
; %bb.94:                               ;   in Loop: Header=BB0_5 Depth=1
	v_cmp_nge_f64_e32 vcc_lo, v[23:24], v[35:36]
	v_cmp_nge_f64_e64 s2, v[21:22], v[35:36]
	v_cmp_nge_f64_e64 s3, v[19:20], v[35:36]
	v_mov_b32_e32 v9, 4
	s_delay_alu instid0(VALU_DEP_3)
	s_or_b32 s2, vcc_lo, s2
	s_delay_alu instid0(VALU_DEP_2) | instid1(SALU_CYCLE_1)
	s_or_b32 s2, s2, s3
	s_delay_alu instid0(SALU_CYCLE_1)
	s_and_saveexec_b32 s8, s2
	s_cbranch_execz .LBB0_96
; %bb.95:                               ;   in Loop: Header=BB0_5 Depth=1
	v_cmp_le_f64_e32 vcc_lo, 0, v[23:24]
	v_cmp_le_f64_e64 s2, 0, v[21:22]
	v_cmp_le_f64_e64 s3, 0, v[19:20]
	v_cmp_lt_f64_e64 s4, v[23:24], v[35:36]
	v_cmp_lt_f64_e64 s5, v[21:22], v[35:36]
	;; [unrolled: 1-line block ×3, first 2 shown]
	s_and_b32 s2, vcc_lo, s2
	s_delay_alu instid0(VALU_DEP_4) | instid1(SALU_CYCLE_1)
	s_and_b32 s2, s2, s3
	s_delay_alu instid0(VALU_DEP_3) | instid1(SALU_CYCLE_1)
	s_and_b32 s2, s4, s2
	s_delay_alu instid0(VALU_DEP_2) | instid1(SALU_CYCLE_1)
	s_and_b32 s2, s2, s5
	s_delay_alu instid0(VALU_DEP_1) | instid1(SALU_CYCLE_1)
	s_and_b32 s2, s2, s6
	s_delay_alu instid0(SALU_CYCLE_1)
	v_cndmask_b32_e64 v9, v39, 0, s2
.LBB0_96:                               ;   in Loop: Header=BB0_5 Depth=1
	s_or_b32 exec_lo, exec_lo, s8
.LBB0_97:                               ;   in Loop: Header=BB0_5 Depth=1
	s_delay_alu instid0(SALU_CYCLE_1)
	s_or_b32 exec_lo, exec_lo, s7
	scratch_load_b32 v10, v9, off
	s_waitcnt vmcnt(0)
	v_lshl_or_b32 v10, 4, s21, v10
	scratch_store_b32 v9, v10, off
.LBB0_98:                               ;   in Loop: Header=BB0_5 Depth=1
	s_or_b32 exec_lo, exec_lo, s13
	s_cmp_lt_i32 s14, 2
	s_cbranch_scc1 .LBB0_103
; %bb.99:                               ;   in Loop: Header=BB0_5 Depth=1
	s_cmp_gt_i32 s14, 2
	s_cbranch_scc0 .LBB0_104
; %bb.100:                              ;   in Loop: Header=BB0_5 Depth=1
	s_cmp_gt_i32 s14, 3
	s_cbranch_scc0 .LBB0_105
; %bb.101:                              ;   in Loop: Header=BB0_5 Depth=1
	s_cmp_eq_u32 s14, 4
	s_cbranch_scc0 .LBB0_106
; %bb.102:                              ;   in Loop: Header=BB0_5 Depth=1
	v_mov_b32_e32 v9, 0xf0
	s_mov_b32 s2, 0
	s_mov_b32 s7, 0
	;; [unrolled: 1-line block ×5, first 2 shown]
	s_branch .LBB0_107
.LBB0_103:                              ;   in Loop: Header=BB0_5 Depth=1
	s_mov_b32 s2, 0
                                        ; implicit-def: $sgpr4
                                        ; implicit-def: $vgpr10
                                        ; implicit-def: $sgpr5
                                        ; implicit-def: $vgpr15
                                        ; implicit-def: $sgpr6
                                        ; implicit-def: $vgpr16
                                        ; implicit-def: $sgpr7
                                        ; implicit-def: $vgpr9
	s_cbranch_execnz .LBB0_112
	s_branch .LBB0_117
.LBB0_104:                              ;   in Loop: Header=BB0_5 Depth=1
	s_mov_b32 s2, 0
                                        ; implicit-def: $sgpr4
                                        ; implicit-def: $vgpr10
                                        ; implicit-def: $sgpr5
                                        ; implicit-def: $vgpr15
                                        ; implicit-def: $sgpr6
                                        ; implicit-def: $vgpr16
                                        ; implicit-def: $sgpr7
                                        ; implicit-def: $vgpr9
	s_cbranch_execnz .LBB0_110
	s_branch .LBB0_111
.LBB0_105:                              ;   in Loop: Header=BB0_5 Depth=1
	s_mov_b32 s2, 0
                                        ; implicit-def: $sgpr4
                                        ; implicit-def: $vgpr10
                                        ; implicit-def: $sgpr5
                                        ; implicit-def: $vgpr15
                                        ; implicit-def: $sgpr6
                                        ; implicit-def: $vgpr16
                                        ; implicit-def: $sgpr7
                                        ; implicit-def: $vgpr9
	s_cbranch_execnz .LBB0_108
	s_branch .LBB0_109
.LBB0_106:                              ;   in Loop: Header=BB0_5 Depth=1
	s_mov_b32 s2, -1
                                        ; implicit-def: $sgpr4
                                        ; implicit-def: $sgpr5
                                        ; implicit-def: $sgpr6
                                        ; implicit-def: $sgpr7
                                        ; implicit-def: $vgpr9
.LBB0_107:                              ;   in Loop: Header=BB0_5 Depth=1
	v_dual_mov_b32 v10, v59 :: v_dual_mov_b32 v15, v62
	v_mov_b32_e32 v16, v61
	s_branch .LBB0_109
.LBB0_108:                              ;   in Loop: Header=BB0_5 Depth=1
	v_dual_mov_b32 v10, v60 :: v_dual_mov_b32 v9, v59
	v_dual_mov_b32 v15, v64 :: v_dual_mov_b32 v16, v62
	s_mov_b32 s7, 2
	s_mov_b32 s6, 3
	;; [unrolled: 1-line block ×4, first 2 shown]
.LBB0_109:                              ;   in Loop: Header=BB0_5 Depth=1
	s_branch .LBB0_111
.LBB0_110:                              ;   in Loop: Header=BB0_5 Depth=1
	v_dual_mov_b32 v9, 0xf0 :: v_dual_mov_b32 v10, v61
	v_dual_mov_b32 v15, v58 :: v_dual_mov_b32 v16, v63
	s_mov_b32 s7, 0
	s_mov_b32 s6, 4
	;; [unrolled: 1-line block ×4, first 2 shown]
.LBB0_111:                              ;   in Loop: Header=BB0_5 Depth=1
	s_branch .LBB0_117
.LBB0_112:                              ;   in Loop: Header=BB0_5 Depth=1
	s_cmp_gt_i32 s14, 0
	s_cbranch_scc0 .LBB0_114
; %bb.113:                              ;   in Loop: Header=BB0_5 Depth=1
	s_mov_b32 s3, 0
	s_mov_b32 s7, 1
	;; [unrolled: 1-line block ×5, first 2 shown]
	s_branch .LBB0_115
.LBB0_114:                              ;   in Loop: Header=BB0_5 Depth=1
	s_mov_b32 s3, -1
                                        ; implicit-def: $sgpr4
                                        ; implicit-def: $sgpr5
                                        ; implicit-def: $sgpr6
                                        ; implicit-def: $sgpr7
.LBB0_115:                              ;   in Loop: Header=BB0_5 Depth=1
	v_dual_mov_b32 v10, v62 :: v_dual_mov_b32 v15, v64
	v_dual_mov_b32 v16, v58 :: v_dual_mov_b32 v9, v61
	s_and_not1_b32 vcc_lo, exec_lo, s3
	s_cbranch_vccnz .LBB0_117
; %bb.116:                              ;   in Loop: Header=BB0_5 Depth=1
	v_dual_mov_b32 v9, 0xf0 :: v_dual_mov_b32 v10, v63
	v_dual_mov_b32 v15, v60 :: v_dual_mov_b32 v16, v59
	s_cmp_lg_u32 s14, 0
	s_mov_b32 s6, 2
	s_mov_b32 s5, 6
	s_mov_b32 s4, 4
	s_cselect_b32 s2, -1, 0
	s_mov_b32 s7, s14
.LBB0_117:                              ;   in Loop: Header=BB0_5 Depth=1
	s_and_b32 vcc_lo, exec_lo, s2
	s_cbranch_vccz .LBB0_119
; %bb.118:                              ;   in Loop: Header=BB0_5 Depth=1
	v_dual_mov_b32 v9, v63 :: v_dual_mov_b32 v16, v60
	v_dual_mov_b32 v15, v64 :: v_dual_mov_b32 v10, v58
	s_mov_b32 s4, 5
	s_mov_b32 s5, 7
	s_mov_b32 s6, 6
	s_mov_b32 s7, 4
.LBB0_119:                              ;   in Loop: Header=BB0_5 Depth=1
	scratch_load_b64 v[17:18], v9, off
	scratch_load_b64 v[19:20], v16, off
	;; [unrolled: 1-line block ×4, first 2 shown]
	s_waitcnt vmcnt(2)
	v_add_f64 v[19:20], v[17:18], v[19:20]
	s_waitcnt vmcnt(1)
	s_delay_alu instid0(VALU_DEP_1) | instskip(SKIP_2) | instid1(VALU_DEP_2)
	v_add_f64 v[15:16], v[19:20], v[15:16]
	v_add_f64 v[19:20], v[17:18], -v[1:2]
	s_waitcnt vmcnt(0)
	v_add_f64 v[15:16], v[15:16], v[9:10]
	v_add_f64 v[9:10], v[9:10], -v[1:2]
	s_delay_alu instid0(VALU_DEP_2) | instskip(NEXT) | instid1(VALU_DEP_2)
	v_fma_f64 v[15:16], 0x3fd00000, v[15:16], -v[1:2]
	v_mul_f64 v[17:18], v[33:34], v[9:10]
	v_mul_f64 v[9:10], v[33:34], v[19:20]
	s_delay_alu instid0(VALU_DEP_3) | instskip(NEXT) | instid1(VALU_DEP_3)
	v_mul_f64 v[15:16], v[33:34], v[15:16]
	v_cmp_ngt_f64_e32 vcc_lo, 0, v[17:18]
	s_delay_alu instid0(VALU_DEP_3) | instskip(NEXT) | instid1(VALU_DEP_3)
	v_cmp_ngt_f64_e64 s3, 0, v[9:10]
	v_cmp_ngt_f64_e64 s2, 0, v[15:16]
	s_delay_alu instid0(VALU_DEP_1)
	s_or_b32 s2, vcc_lo, s2
	s_delay_alu instid0(VALU_DEP_2) | instid1(SALU_CYCLE_1)
	s_or_b32 s2, s2, s3
	s_delay_alu instid0(SALU_CYCLE_1)
	s_and_saveexec_b32 s13, s2
	s_cbranch_execz .LBB0_4
; %bb.120:                              ;   in Loop: Header=BB0_5 Depth=1
	v_cmp_nle_f64_e32 vcc_lo, 1.0, v[17:18]
	v_cmp_nle_f64_e64 s2, 1.0, v[15:16]
	v_cmp_nle_f64_e64 s3, 1.0, v[9:10]
	s_delay_alu instid0(VALU_DEP_2)
	s_or_b32 s2, vcc_lo, s2
	s_delay_alu instid0(VALU_DEP_1) | instid1(SALU_CYCLE_1)
	s_or_b32 s2, s2, s3
	s_delay_alu instid0(SALU_CYCLE_1)
	s_and_b32 exec_lo, exec_lo, s2
	s_cbranch_execz .LBB0_4
; %bb.121:                              ;   in Loop: Header=BB0_5 Depth=1
	s_lshl_b32 s2, s7, 3
	s_lshl_b32 s6, s6, 3
	v_add_nc_u32_e64 v19, 0xf0, s2
	s_add_i32 s2, s6, 0xf0
	s_lshl_b32 s5, s5, 3
	s_lshl_b32 s4, s4, 3
	s_delay_alu instid0(VALU_DEP_1)
	v_add_nc_u32_e32 v20, 64, v19
	s_clause 0x1
	scratch_load_b64 v[20:21], v20, off
	scratch_load_b64 v[22:23], off, s2 offset:64
	s_add_i32 s2, s5, 0xf0
	scratch_load_b64 v[24:25], off, s2 offset:64
	s_add_i32 s2, s4, 0xf0
	scratch_load_b64 v[26:27], off, s2 offset:64
	s_waitcnt vmcnt(2)
	v_add_f64 v[22:23], v[20:21], v[22:23]
	v_add_f64 v[20:21], v[20:21], -v[5:6]
	s_waitcnt vmcnt(1)
	s_delay_alu instid0(VALU_DEP_2) | instskip(SKIP_2) | instid1(VALU_DEP_2)
	v_add_f64 v[22:23], v[22:23], v[24:25]
	s_waitcnt vmcnt(0)
	v_add_f64 v[24:25], v[26:27], -v[5:6]
	v_add_f64 v[22:23], v[22:23], v[26:27]
	s_delay_alu instid0(VALU_DEP_2) | instskip(SKIP_1) | instid1(VALU_DEP_3)
	v_mul_f64 v[37:38], v[31:32], v[24:25]
	v_mul_f64 v[25:26], v[31:32], v[20:21]
	v_fma_f64 v[22:23], 0x3fd00000, v[22:23], -v[5:6]
	s_delay_alu instid0(VALU_DEP_3) | instskip(NEXT) | instid1(VALU_DEP_3)
	v_cmp_ngt_f64_e32 vcc_lo, 0, v[37:38]
	v_cmp_ngt_f64_e64 s3, 0, v[25:26]
	s_delay_alu instid0(VALU_DEP_3) | instskip(NEXT) | instid1(VALU_DEP_1)
	v_mul_f64 v[27:28], v[31:32], v[22:23]
	v_cmp_ngt_f64_e64 s2, 0, v[27:28]
	s_delay_alu instid0(VALU_DEP_1)
	s_or_b32 s2, vcc_lo, s2
	s_delay_alu instid0(VALU_DEP_3) | instid1(SALU_CYCLE_1)
	s_or_b32 s2, s2, s3
	s_delay_alu instid0(SALU_CYCLE_1)
	s_and_b32 exec_lo, exec_lo, s2
	s_cbranch_execz .LBB0_4
; %bb.122:                              ;   in Loop: Header=BB0_5 Depth=1
	v_cmp_nle_f64_e32 vcc_lo, 1.0, v[37:38]
	v_cmp_nle_f64_e64 s2, 1.0, v[27:28]
	v_cmp_nle_f64_e64 s3, 1.0, v[25:26]
	s_delay_alu instid0(VALU_DEP_2)
	s_or_b32 s2, vcc_lo, s2
	s_delay_alu instid0(VALU_DEP_1) | instid1(SALU_CYCLE_1)
	s_or_b32 s2, s2, s3
	s_delay_alu instid0(SALU_CYCLE_1)
	s_and_b32 exec_lo, exec_lo, s2
	s_cbranch_execz .LBB0_4
; %bb.123:                              ;   in Loop: Header=BB0_5 Depth=1
	v_add_nc_u32_e32 v19, 0x80, v19
	v_add_nc_u32_e64 v21, 0xf0, s6
	v_add_nc_u32_e64 v23, 0xf0, s5
	;; [unrolled: 1-line block ×3, first 2 shown]
	s_clause 0x3
	scratch_load_b64 v[19:20], v19, off
	scratch_load_b64 v[21:22], v21, off offset:128
	scratch_load_b64 v[23:24], v23, off offset:128
	scratch_load_b64 v[40:41], v40, off offset:128
	s_waitcnt vmcnt(2)
	v_add_f64 v[21:22], v[19:20], v[21:22]
	v_add_f64 v[19:20], v[19:20], -v[7:8]
	s_waitcnt vmcnt(1)
	s_delay_alu instid0(VALU_DEP_2) | instskip(SKIP_2) | instid1(VALU_DEP_3)
	v_add_f64 v[21:22], v[21:22], v[23:24]
	s_waitcnt vmcnt(0)
	v_add_f64 v[23:24], v[40:41], -v[7:8]
	v_cmp_ngt_f64_e64 s3, 0, v[19:20]
	s_delay_alu instid0(VALU_DEP_3) | instskip(NEXT) | instid1(VALU_DEP_3)
	v_add_f64 v[21:22], v[21:22], v[40:41]
	v_cmp_ngt_f64_e32 vcc_lo, 0, v[23:24]
	s_delay_alu instid0(VALU_DEP_2) | instskip(NEXT) | instid1(VALU_DEP_1)
	v_fma_f64 v[21:22], 0x3fd00000, v[21:22], -v[7:8]
	v_cmp_ngt_f64_e64 s2, 0, v[21:22]
	s_delay_alu instid0(VALU_DEP_1) | instskip(NEXT) | instid1(SALU_CYCLE_1)
	s_or_b32 s2, vcc_lo, s2
	s_or_b32 s2, s2, s3
	s_delay_alu instid0(SALU_CYCLE_1)
	s_and_b32 exec_lo, exec_lo, s2
	s_cbranch_execz .LBB0_4
; %bb.124:                              ;   in Loop: Header=BB0_5 Depth=1
	v_cmp_le_f64_e32 vcc_lo, 0, v[17:18]
	v_cmp_le_f64_e64 s2, 0, v[15:16]
	v_cmp_le_f64_e64 s3, 0, v[9:10]
	v_cmp_gt_f64_e64 s4, 1.0, v[17:18]
	v_cmp_gt_f64_e64 s5, 1.0, v[15:16]
	;; [unrolled: 1-line block ×3, first 2 shown]
	v_cmp_le_f64_e64 s7, 0, v[37:38]
	v_cmp_le_f64_e64 s8, 0, v[27:28]
	;; [unrolled: 1-line block ×3, first 2 shown]
	v_cmp_gt_f64_e64 s10, 1.0, v[37:38]
	v_cmp_gt_f64_e64 s11, 1.0, v[27:28]
	;; [unrolled: 1-line block ×3, first 2 shown]
	v_mov_b32_e32 v9, 8
	s_and_b32 s2, vcc_lo, s2
	s_delay_alu instid0(SALU_CYCLE_1) | instskip(NEXT) | instid1(SALU_CYCLE_1)
	s_and_b32 s2, s2, s3
	s_and_b32 s2, s4, s2
	s_delay_alu instid0(SALU_CYCLE_1) | instskip(NEXT) | instid1(SALU_CYCLE_1)
	s_and_b32 s2, s2, s5
	s_and_b32 s2, s2, s6
	;; [unrolled: 3-line block ×3, first 2 shown]
	s_delay_alu instid0(SALU_CYCLE_1)
	s_and_b32 s2, s2, s9
	s_delay_alu instid0(VALU_DEP_4) | instid1(SALU_CYCLE_1)
	s_and_b32 s2, s10, s2
	s_delay_alu instid0(VALU_DEP_3) | instid1(SALU_CYCLE_1)
	s_and_b32 s2, s2, s11
	s_delay_alu instid0(VALU_DEP_2) | instid1(SALU_CYCLE_1)
	s_and_b32 s2, s2, s12
	s_delay_alu instid0(SALU_CYCLE_1)
	s_and_saveexec_b32 s7, s2
	s_cbranch_execz .LBB0_3
; %bb.125:                              ;   in Loop: Header=BB0_5 Depth=1
	v_cmp_nge_f64_e32 vcc_lo, v[23:24], v[35:36]
	v_cmp_nge_f64_e64 s2, v[21:22], v[35:36]
	v_cmp_nge_f64_e64 s3, v[19:20], v[35:36]
	v_mov_b32_e32 v9, 4
	s_delay_alu instid0(VALU_DEP_3)
	s_or_b32 s2, vcc_lo, s2
	s_delay_alu instid0(VALU_DEP_2) | instid1(SALU_CYCLE_1)
	s_or_b32 s2, s2, s3
	s_delay_alu instid0(SALU_CYCLE_1)
	s_and_saveexec_b32 s8, s2
	s_cbranch_execz .LBB0_2
; %bb.126:                              ;   in Loop: Header=BB0_5 Depth=1
	v_cmp_le_f64_e32 vcc_lo, 0, v[23:24]
	v_cmp_le_f64_e64 s2, 0, v[21:22]
	v_cmp_le_f64_e64 s3, 0, v[19:20]
	v_cmp_lt_f64_e64 s4, v[23:24], v[35:36]
	v_cmp_lt_f64_e64 s5, v[21:22], v[35:36]
	;; [unrolled: 1-line block ×3, first 2 shown]
	s_and_b32 s2, vcc_lo, s2
	s_delay_alu instid0(VALU_DEP_4) | instid1(SALU_CYCLE_1)
	s_and_b32 s2, s2, s3
	s_delay_alu instid0(VALU_DEP_3) | instid1(SALU_CYCLE_1)
	s_and_b32 s2, s4, s2
	s_delay_alu instid0(VALU_DEP_2) | instid1(SALU_CYCLE_1)
	s_and_b32 s2, s2, s5
	s_delay_alu instid0(VALU_DEP_1) | instid1(SALU_CYCLE_1)
	s_and_b32 s2, s2, s6
	s_delay_alu instid0(SALU_CYCLE_1)
	v_cndmask_b32_e64 v9, v39, 0, s2
	s_branch .LBB0_2
.LBB0_127:
	scratch_load_b32 v9, off, off offset:8
	s_mov_b32 s2, exec_lo
	s_waitcnt vmcnt(0)
	v_dual_mov_b32 v41, 0 :: v_dual_and_b32 v10, 1, v9
	s_delay_alu instid0(VALU_DEP_1)
	v_cmpx_eq_u32_e32 1, v10
	s_cbranch_execz .LBB0_129
; %bb.128:
	v_dual_mov_b32 v10, 0 :: v_dual_mov_b32 v41, 1
	scratch_store_b8 off, v10, off offset:16
.LBB0_129:
	s_or_b32 exec_lo, exec_lo, s2
	v_and_b32_e32 v10, 2, v9
	s_mov_b32 s2, exec_lo
	s_delay_alu instid0(VALU_DEP_1)
	v_cmpx_ne_u32_e32 0, v10
	s_cbranch_execz .LBB0_131
; %bb.130:
	v_add_nc_u32_e32 v10, 1, v41
	v_or_b32_e32 v15, 16, v41
	s_delay_alu instid0(VALU_DEP_2)
	v_dual_mov_b32 v16, 1 :: v_dual_mov_b32 v41, v10
	scratch_store_b8 v15, v16, off
.LBB0_131:
	s_or_b32 exec_lo, exec_lo, s2
	v_and_b32_e32 v10, 4, v9
	s_mov_b32 s2, exec_lo
	s_delay_alu instid0(VALU_DEP_1)
	v_cmpx_ne_u32_e32 0, v10
	s_cbranch_execz .LBB0_133
; %bb.132:
	v_or_b32_e32 v10, 16, v41
	v_mov_b32_e32 v15, 2
	v_add_nc_u32_e32 v41, 1, v41
	scratch_store_b8 v10, v15, off
.LBB0_133:
	s_or_b32 exec_lo, exec_lo, s2
	v_and_b32_e32 v10, 8, v9
	s_mov_b32 s2, exec_lo
	s_delay_alu instid0(VALU_DEP_1)
	v_cmpx_ne_u32_e32 0, v10
	s_cbranch_execz .LBB0_135
; %bb.134:
	v_or_b32_e32 v10, 16, v41
	v_mov_b32_e32 v15, 3
	v_add_nc_u32_e32 v41, 1, v41
	scratch_store_b8 v10, v15, off
.LBB0_135:
	;; [unrolled: 12-line block ×3, first 2 shown]
	s_or_b32 exec_lo, exec_lo, s2
	v_and_b32_e32 v10, 32, v9
	s_mov_b32 s2, exec_lo
	s_delay_alu instid0(VALU_DEP_1)
	v_cmpx_ne_u32_e32 0, v10
	s_cbranch_execz .LBB0_139
; %bb.138:
	v_dual_mov_b32 v10, 5 :: v_dual_add_nc_u32 v15, 1, v41
	scratch_store_b8 v41, v10, off offset:16
	v_mov_b32_e32 v41, v15
.LBB0_139:
	s_or_b32 exec_lo, exec_lo, s2
	v_and_b32_e32 v10, 64, v9
	s_mov_b32 s2, exec_lo
	s_delay_alu instid0(VALU_DEP_1)
	v_cmpx_ne_u32_e32 0, v10
	s_cbranch_execz .LBB0_141
; %bb.140:
	v_dual_mov_b32 v10, 6 :: v_dual_add_nc_u32 v15, 1, v41
	scratch_store_b8 v41, v10, off offset:16
	v_mov_b32_e32 v41, v15
.LBB0_141:
	;; [unrolled: 11-line block ×19, first 2 shown]
	s_or_b32 exec_lo, exec_lo, s2
	v_mul_f64 v[37:38], v[11:12], 0.5
	v_mul_f64 v[39:40], v[13:14], 0.5
	v_mov_b32_e32 v11, 0
	v_mov_b32_e32 v12, 0
	v_mul_u32_u24_e32 v0, 0xf8, v0
	s_delay_alu instid0(VALU_DEP_3)
	v_mov_b32_e32 v9, v11
	s_mov_b32 s9, 0
	s_mov_b64 s[4:5], 0
	v_mov_b32_e32 v10, v12
	v_dual_mov_b32 v16, v12 :: v_dual_mov_b32 v15, v11
	v_dual_mov_b32 v14, v12 :: v_dual_mov_b32 v13, v11
	s_mov_b32 s8, exec_lo
	v_cmpx_ne_u32_e32 0, v41
	s_cbranch_execz .LBB0_339
; %bb.176:
	v_dual_mov_b32 v13, 0 :: v_dual_add_nc_u32 v68, 8, v0
	v_dual_mov_b32 v14, 0 :: v_dual_add_nc_u32 v69, 0xa8, v0
	;; [unrolled: 1-line block ×3, first 2 shown]
	v_add_nc_u32_e32 v71, 0xb0, v0
	s_delay_alu instid0(VALU_DEP_4)
	v_dual_mov_b32 v9, v13 :: v_dual_add_nc_u32 v74, 0x48, v0
	v_dual_mov_b32 v11, v13 :: v_dual_add_nc_u32 v76, 16, v0
	;; [unrolled: 1-line block ×3, first 2 shown]
	v_mov_b32_e32 v42, v43
	v_dual_mov_b32 v77, 0x3ff00000 :: v_dual_add_nc_u32 v70, 16, v0
	v_dual_mov_b32 v15, v13 :: v_dual_add_nc_u32 v72, 0x58, v0
	v_dual_mov_b32 v10, v14 :: v_dual_add_nc_u32 v73, -8, v0
	v_dual_mov_b32 v12, v14 :: v_dual_add_nc_u32 v75, 24, v0
	s_mov_b32 s6, 0x55555555
	s_mov_b32 s7, 0x3fd55555
	s_add_i32 s10, 48, 64
	s_branch .LBB0_178
.LBB0_177:                              ;   in Loop: Header=BB0_178 Depth=1
	s_or_b32 exec_lo, exec_lo, s2
	s_add_u32 s4, s4, 1
	s_addc_u32 s5, s5, 0
	s_delay_alu instid0(SALU_CYCLE_1) | instskip(SKIP_1) | instid1(SALU_CYCLE_1)
	v_cmp_eq_u64_e32 vcc_lo, s[4:5], v[41:42]
	s_or_b32 s9, vcc_lo, s9
	s_and_not1_b32 exec_lo, exec_lo, s9
	s_cbranch_execz .LBB0_338
.LBB0_178:                              ; =>This Loop Header: Depth=1
                                        ;     Child Loop BB0_239 Depth 2
                                        ;     Child Loop BB0_253 Depth 2
	;; [unrolled: 1-line block ×11, first 2 shown]
	s_add_i32 s2, s4, 16
                                        ; implicit-def: $vgpr22
                                        ; implicit-def: $vgpr17
                                        ; implicit-def: $vgpr21
                                        ; implicit-def: $vgpr18
                                        ; implicit-def: $vgpr23
                                        ; implicit-def: $vgpr25
                                        ; implicit-def: $vgpr24
	scratch_load_u8 v20, off, s2
	s_mov_b32 s2, exec_lo
	s_waitcnt vmcnt(0)
	v_lshrrev_b32_e32 v19, 2, v20
	s_delay_alu instid0(VALU_DEP_1)
	v_cmpx_lt_i32_e32 1, v19
	s_xor_b32 s2, exec_lo, s2
	s_cbranch_execz .LBB0_192
; %bb.179:                              ;   in Loop: Header=BB0_178 Depth=1
	s_mov_b32 s3, exec_lo
                                        ; implicit-def: $vgpr22
                                        ; implicit-def: $vgpr17
                                        ; implicit-def: $vgpr21
                                        ; implicit-def: $vgpr18
                                        ; implicit-def: $vgpr23
                                        ; implicit-def: $vgpr25
                                        ; implicit-def: $vgpr24
	v_cmpx_lt_i32_e32 2, v19
	s_xor_b32 s3, exec_lo, s3
	s_cbranch_execz .LBB0_189
; %bb.180:                              ;   in Loop: Header=BB0_178 Depth=1
	s_mov_b32 s11, exec_lo
                                        ; implicit-def: $vgpr22
                                        ; implicit-def: $vgpr17
                                        ; implicit-def: $vgpr21
                                        ; implicit-def: $vgpr18
                                        ; implicit-def: $vgpr23
                                        ; implicit-def: $vgpr25
                                        ; implicit-def: $vgpr24
	v_cmpx_lt_i32_e32 3, v19
	s_xor_b32 s11, exec_lo, s11
	s_cbranch_execz .LBB0_186
; %bb.181:                              ;   in Loop: Header=BB0_178 Depth=1
	s_mov_b32 s12, exec_lo
                                        ; implicit-def: $sgpr13
                                        ; implicit-def: $sgpr14
                                        ; implicit-def: $sgpr15
                                        ; implicit-def: $sgpr16
	v_cmpx_ne_u32_e32 4, v19
	s_xor_b32 s12, exec_lo, s12
; %bb.182:                              ;   in Loop: Header=BB0_178 Depth=1
	s_mov_b32 s16, 4
	s_mov_b32 s15, 6
	;; [unrolled: 1-line block ×4, first 2 shown]
; %bb.183:                              ;   in Loop: Header=BB0_178 Depth=1
	s_or_saveexec_b32 s12, s12
	v_dual_mov_b32 v22, s13 :: v_dual_mov_b32 v21, s14
	v_dual_mov_b32 v23, s15 :: v_dual_mov_b32 v18, v64
	;; [unrolled: 1-line block ×3, first 2 shown]
	v_mov_b32_e32 v17, v58
	v_mov_b32_e32 v25, v60
	s_xor_b32 exec_lo, exec_lo, s12
; %bb.184:                              ;   in Loop: Header=BB0_178 Depth=1
	v_dual_mov_b32 v24, 0xf0 :: v_dual_mov_b32 v21, 3
	v_dual_mov_b32 v22, 2 :: v_dual_mov_b32 v23, 1
	v_dual_mov_b32 v19, 0 :: v_dual_mov_b32 v18, v62
	v_mov_b32_e32 v17, v59
	v_mov_b32_e32 v25, v61
; %bb.185:                              ;   in Loop: Header=BB0_178 Depth=1
	s_or_b32 exec_lo, exec_lo, s12
.LBB0_186:                              ;   in Loop: Header=BB0_178 Depth=1
	s_and_not1_saveexec_b32 s11, s11
; %bb.187:                              ;   in Loop: Header=BB0_178 Depth=1
	v_dual_mov_b32 v22, 6 :: v_dual_mov_b32 v21, 7
	v_dual_mov_b32 v23, 3 :: v_dual_mov_b32 v18, v64
	;; [unrolled: 1-line block ×3, first 2 shown]
	v_mov_b32_e32 v17, v60
	v_mov_b32_e32 v25, v62
; %bb.188:                              ;   in Loop: Header=BB0_178 Depth=1
	s_or_b32 exec_lo, exec_lo, s11
.LBB0_189:                              ;   in Loop: Header=BB0_178 Depth=1
	s_and_not1_saveexec_b32 s3, s3
; %bb.190:                              ;   in Loop: Header=BB0_178 Depth=1
	v_dual_mov_b32 v24, 0xf0 :: v_dual_mov_b32 v21, 5
	v_dual_mov_b32 v22, 1 :: v_dual_mov_b32 v23, 4
	;; [unrolled: 1-line block ×3, first 2 shown]
	v_mov_b32_e32 v17, v61
	v_mov_b32_e32 v25, v63
; %bb.191:                              ;   in Loop: Header=BB0_178 Depth=1
	s_or_b32 exec_lo, exec_lo, s3
.LBB0_192:                              ;   in Loop: Header=BB0_178 Depth=1
	s_and_not1_saveexec_b32 s2, s2
	s_cbranch_execz .LBB0_196
; %bb.193:                              ;   in Loop: Header=BB0_178 Depth=1
	v_dual_mov_b32 v24, 0xf0 :: v_dual_mov_b32 v21, 6
	v_dual_mov_b32 v22, 4 :: v_dual_mov_b32 v23, 2
	;; [unrolled: 1-line block ×3, first 2 shown]
	v_mov_b32_e32 v25, v59
	s_mov_b32 s3, exec_lo
	v_cmpx_lt_i32_e32 0, v19
; %bb.194:                              ;   in Loop: Header=BB0_178 Depth=1
	v_dual_mov_b32 v22, 3 :: v_dual_mov_b32 v21, 7
	v_dual_mov_b32 v23, 5 :: v_dual_mov_b32 v18, v64
	;; [unrolled: 1-line block ×3, first 2 shown]
	v_mov_b32_e32 v17, v62
	v_mov_b32_e32 v25, v58
; %bb.195:                              ;   in Loop: Header=BB0_178 Depth=1
	s_or_b32 exec_lo, exec_lo, s3
.LBB0_196:                              ;   in Loop: Header=BB0_178 Depth=1
	s_delay_alu instid0(SALU_CYCLE_1)
	s_or_b32 exec_lo, exec_lo, s2
	v_lshl_add_u32 v28, v19, 3, 0xf0
	v_lshl_add_u32 v52, v23, 3, 0xf0
	;; [unrolled: 1-line block ×3, first 2 shown]
	scratch_load_b64 v[26:27], v24, off
	scratch_load_b64 v[24:25], v25, off
	s_clause 0x1
	scratch_load_b64 v[44:45], v28, off offset:64
	scratch_load_b64 v[46:47], v52, off offset:64
	scratch_load_b64 v[48:49], v18, off
	s_clause 0x2
	scratch_load_b64 v[50:51], v80, off offset:64
	scratch_load_b64 v[52:53], v52, off offset:128
	;; [unrolled: 1-line block ×3, first 2 shown]
	v_lshl_add_u32 v28, v22, 3, 0xf0
	scratch_load_b64 v[17:18], v17, off
	s_clause 0x2
	scratch_load_b64 v[56:57], v28, off offset:128
	scratch_load_b64 v[78:79], v28, off offset:64
	;; [unrolled: 1-line block ×3, first 2 shown]
	s_mov_b32 s2, exec_lo
	s_waitcnt vmcnt(10)
	v_add_f64 v[24:25], v[26:27], v[24:25]
	s_waitcnt vmcnt(8)
	v_add_f64 v[26:27], v[44:45], v[46:47]
	;; [unrolled: 2-line block ×3, first 2 shown]
	s_delay_alu instid0(VALU_DEP_3) | instskip(NEXT) | instid1(VALU_DEP_3)
	v_add_f64 v[24:25], v[24:25], v[48:49]
	v_add_f64 v[26:27], v[26:27], v[50:51]
	s_waitcnt vmcnt(3)
	s_delay_alu instid0(VALU_DEP_2) | instskip(SKIP_1) | instid1(VALU_DEP_2)
	v_add_f64 v[17:18], v[24:25], v[17:18]
	s_waitcnt vmcnt(1)
	v_add_f64 v[24:25], v[26:27], v[78:79]
	s_waitcnt vmcnt(0)
	v_add_f64 v[26:27], v[44:45], v[80:81]
	s_delay_alu instid0(VALU_DEP_3) | instskip(NEXT) | instid1(VALU_DEP_3)
	v_fma_f64 v[17:18], 0x3fd00000, v[17:18], -v[1:2]
	v_fma_f64 v[24:25], 0x3fd00000, v[24:25], -v[5:6]
	s_delay_alu instid0(VALU_DEP_3) | instskip(NEXT) | instid1(VALU_DEP_3)
	v_add_f64 v[26:27], v[26:27], v[56:57]
	v_mul_f64 v[44:45], v[33:34], v[17:18]
	s_delay_alu instid0(VALU_DEP_3) | instskip(NEXT) | instid1(VALU_DEP_3)
	v_mul_f64 v[17:18], v[31:32], v[24:25]
	v_fma_f64 v[24:25], 0x3fd00000, v[26:27], -v[7:8]
	ds_store_2addr_b64 v0, v[44:45], v[17:18] offset0:1 offset1:11
	ds_store_b64 v0, v[24:25] offset:168
	v_and_b32_e32 v24, 3, v20
                                        ; implicit-def: $vgpr20
	s_delay_alu instid0(VALU_DEP_1)
	v_cmpx_lt_i32_e32 1, v24
	s_xor_b32 s2, exec_lo, s2
	s_cbranch_execz .LBB0_202
; %bb.197:                              ;   in Loop: Header=BB0_178 Depth=1
	s_mov_b32 s3, exec_lo
	v_cmpx_lt_i32_e32 2, v24
	s_xor_b32 s3, exec_lo, s3
; %bb.198:                              ;   in Loop: Header=BB0_178 Depth=1
                                        ; implicit-def: $vgpr21
; %bb.199:                              ;   in Loop: Header=BB0_178 Depth=1
	s_delay_alu instid0(SALU_CYCLE_1)
	s_or_saveexec_b32 s3, s3
	v_mov_b32_e32 v20, v22
	s_xor_b32 exec_lo, exec_lo, s3
; %bb.200:                              ;   in Loop: Header=BB0_178 Depth=1
	v_dual_mov_b32 v20, v21 :: v_dual_mov_b32 v19, v22
; %bb.201:                              ;   in Loop: Header=BB0_178 Depth=1
	s_or_b32 exec_lo, exec_lo, s3
                                        ; implicit-def: $vgpr23
                                        ; implicit-def: $vgpr21
                                        ; implicit-def: $vgpr24
.LBB0_202:                              ;   in Loop: Header=BB0_178 Depth=1
	s_and_not1_saveexec_b32 s2, s2
	s_cbranch_execz .LBB0_206
; %bb.203:                              ;   in Loop: Header=BB0_178 Depth=1
	s_mov_b32 s3, exec_lo
	v_cmpx_eq_u32_e32 1, v24
; %bb.204:                              ;   in Loop: Header=BB0_178 Depth=1
	v_mov_b32_e32 v19, v23
	v_mov_b32_e32 v23, v21
; %bb.205:                              ;   in Loop: Header=BB0_178 Depth=1
	s_or_b32 exec_lo, exec_lo, s3
	s_delay_alu instid0(VALU_DEP_2) | instskip(NEXT) | instid1(VALU_DEP_2)
	v_mov_b32_e32 v20, v19
	v_mov_b32_e32 v19, v23
.LBB0_206:                              ;   in Loop: Header=BB0_178 Depth=1
	s_or_b32 exec_lo, exec_lo, s2
	s_delay_alu instid0(VALU_DEP_1) | instskip(NEXT) | instid1(VALU_DEP_2)
	v_lshl_add_u32 v28, v20, 3, 0xf0
	v_lshl_add_u32 v19, v19, 3, 0xf0
	s_mov_b32 s2, 0
	s_mov_b32 s3, exec_lo
                                        ; implicit-def: $sgpr11
                                        ; implicit-def: $sgpr12
                                        ; implicit-def: $sgpr13
	s_delay_alu instid0(VALU_DEP_2) | instskip(NEXT) | instid1(VALU_DEP_2)
	v_add_nc_u32_e32 v20, 64, v28
	v_add_nc_u32_e32 v26, 64, v19
	s_clause 0x3
	scratch_load_b64 v[20:21], v20, off
	scratch_load_b64 v[22:23], v28, off
	;; [unrolled: 1-line block ×4, first 2 shown]
	v_add_nc_u32_e32 v28, 0x80, v28
	v_add_nc_u32_e32 v19, 0x80, v19
	s_clause 0x1
	scratch_load_b64 v[48:49], v28, off
	scratch_load_b64 v[50:51], v19, off
	s_waitcnt vmcnt(5)
	v_add_f64 v[19:20], v[20:21], -v[5:6]
	s_waitcnt vmcnt(4)
	v_add_f64 v[21:22], v[22:23], -v[1:2]
	;; [unrolled: 2-line block ×4, first 2 shown]
	s_delay_alu instid0(VALU_DEP_4) | instskip(NEXT) | instid1(VALU_DEP_4)
	v_mul_f64 v[46:47], v[31:32], v[19:20]
	v_mul_f64 v[27:28], v[33:34], v[21:22]
	s_delay_alu instid0(VALU_DEP_4) | instskip(NEXT) | instid1(VALU_DEP_4)
	v_mul_f64 v[44:45], v[33:34], v[23:24]
	v_mul_f64 v[19:20], v[31:32], v[25:26]
	s_waitcnt vmcnt(1)
	v_add_f64 v[21:22], v[48:49], -v[7:8]
	s_waitcnt vmcnt(0)
	v_add_f64 v[23:24], v[50:51], -v[7:8]
                                        ; implicit-def: $vgpr25_vgpr26
	ds_store_2addr_b64 v0, v[27:28], v[44:45] offset1:2
	ds_store_2addr_b64 v0, v[46:47], v[19:20] offset0:10 offset1:12
	ds_store_2addr_b64 v0, v[21:22], v[23:24] offset0:20 offset1:22
	v_cmpx_ngt_f64_e32 1.0, v[46:47]
	s_xor_b32 s3, exec_lo, s3
	s_cbranch_execz .LBB0_210
; %bb.207:                              ;   in Loop: Header=BB0_178 Depth=1
	s_mov_b32 s13, exec_lo
                                        ; implicit-def: $sgpr11
                                        ; implicit-def: $sgpr12
                                        ; implicit-def: $vgpr25_vgpr26
	v_cmpx_gt_f64_e32 1.0, v[19:20]
	s_xor_b32 s13, exec_lo, s13
	s_cbranch_execz .LBB0_209
; %bb.208:                              ;   in Loop: Header=BB0_178 Depth=1
	v_add_f64 v[25:26], v[46:47], -v[19:20]
	v_add_f64 v[46:47], -v[19:20], 1.0
	v_add_f64 v[27:28], v[27:28], -v[44:45]
	s_mov_b32 s2, exec_lo
	s_mov_b32 s12, 9
	s_mov_b32 s11, 8
	s_delay_alu instid0(VALU_DEP_2) | instskip(SKIP_1) | instid1(VALU_DEP_2)
	v_div_scale_f64 v[48:49], null, v[25:26], v[25:26], v[46:47]
	v_div_scale_f64 v[54:55], vcc_lo, v[46:47], v[25:26], v[46:47]
	v_rcp_f64_e32 v[50:51], v[48:49]
	s_waitcnt_depctr 0xfff
	v_fma_f64 v[52:53], -v[48:49], v[50:51], 1.0
	s_delay_alu instid0(VALU_DEP_1) | instskip(NEXT) | instid1(VALU_DEP_1)
	v_fma_f64 v[50:51], v[50:51], v[52:53], v[50:51]
	v_fma_f64 v[52:53], -v[48:49], v[50:51], 1.0
	s_delay_alu instid0(VALU_DEP_1) | instskip(NEXT) | instid1(VALU_DEP_1)
	v_fma_f64 v[50:51], v[50:51], v[52:53], v[50:51]
	v_mul_f64 v[52:53], v[54:55], v[50:51]
	s_delay_alu instid0(VALU_DEP_1) | instskip(NEXT) | instid1(VALU_DEP_1)
	v_fma_f64 v[48:49], -v[48:49], v[52:53], v[54:55]
	v_div_fmas_f64 v[48:49], v[48:49], v[50:51], v[52:53]
	s_delay_alu instid0(VALU_DEP_1) | instskip(NEXT) | instid1(VALU_DEP_1)
	v_div_fixup_f64 v[25:26], v[48:49], v[25:26], v[46:47]
	v_fma_f64 v[27:28], v[27:28], v[25:26], v[44:45]
	v_mov_b32_e32 v44, v77
	ds_store_2addr_b64 v0, v[27:28], v[43:44] offset0:9 offset1:19
.LBB0_209:                              ;   in Loop: Header=BB0_178 Depth=1
	s_or_b32 exec_lo, exec_lo, s13
	s_mov_b32 s13, 9
	s_and_b32 s2, s2, exec_lo
                                        ; implicit-def: $vgpr27_vgpr28
                                        ; implicit-def: $vgpr46_vgpr47
                                        ; implicit-def: $vgpr44_vgpr45
.LBB0_210:                              ;   in Loop: Header=BB0_178 Depth=1
	s_or_saveexec_b32 s3, s3
	v_dual_mov_b32 v49, s11 :: v_dual_mov_b32 v50, s12
	v_mov_b32_e32 v48, s13
	s_xor_b32 exec_lo, exec_lo, s3
	s_cbranch_execz .LBB0_214
; %bb.211:                              ;   in Loop: Header=BB0_178 Depth=1
	s_mov_b32 s11, s2
	s_mov_b32 s12, exec_lo
	ds_store_2addr_b64 v0, v[27:28], v[46:47] offset0:9 offset1:19
	ds_store_b64 v0, v[21:22] offset:232
                                        ; implicit-def: $sgpr14
                                        ; implicit-def: $sgpr13
                                        ; implicit-def: $vgpr25_vgpr26
	v_cmpx_le_f64_e32 1.0, v[19:20]
	s_cbranch_execz .LBB0_213
; %bb.212:                              ;   in Loop: Header=BB0_178 Depth=1
	v_add_f64 v[25:26], v[19:20], -v[46:47]
	v_add_f64 v[46:47], -v[46:47], 1.0
	v_add_f64 v[44:45], v[44:45], -v[27:28]
	s_mov_b32 s13, 8
	s_mov_b32 s14, 7
	s_or_b32 s11, s2, exec_lo
	s_delay_alu instid0(VALU_DEP_2) | instskip(SKIP_1) | instid1(VALU_DEP_2)
	v_div_scale_f64 v[48:49], null, v[25:26], v[25:26], v[46:47]
	v_div_scale_f64 v[54:55], vcc_lo, v[46:47], v[25:26], v[46:47]
	v_rcp_f64_e32 v[50:51], v[48:49]
	s_waitcnt_depctr 0xfff
	v_fma_f64 v[52:53], -v[48:49], v[50:51], 1.0
	s_delay_alu instid0(VALU_DEP_1) | instskip(NEXT) | instid1(VALU_DEP_1)
	v_fma_f64 v[50:51], v[50:51], v[52:53], v[50:51]
	v_fma_f64 v[52:53], -v[48:49], v[50:51], 1.0
	s_delay_alu instid0(VALU_DEP_1) | instskip(NEXT) | instid1(VALU_DEP_1)
	v_fma_f64 v[50:51], v[50:51], v[52:53], v[50:51]
	v_mul_f64 v[52:53], v[54:55], v[50:51]
	s_delay_alu instid0(VALU_DEP_1) | instskip(NEXT) | instid1(VALU_DEP_1)
	v_fma_f64 v[48:49], -v[48:49], v[52:53], v[54:55]
	v_div_fmas_f64 v[48:49], v[48:49], v[50:51], v[52:53]
	s_delay_alu instid0(VALU_DEP_1) | instskip(NEXT) | instid1(VALU_DEP_1)
	v_div_fixup_f64 v[25:26], v[48:49], v[25:26], v[46:47]
	v_fma_f64 v[27:28], v[44:45], v[25:26], v[27:28]
	v_mov_b32_e32 v44, v77
	ds_store_2addr_b64 v0, v[27:28], v[43:44] offset0:8 offset1:18
.LBB0_213:                              ;   in Loop: Header=BB0_178 Depth=1
	s_or_b32 exec_lo, exec_lo, s12
	v_dual_mov_b32 v28, v24 :: v_dual_mov_b32 v27, v23
	v_mov_b32_e32 v24, v22
	v_dual_mov_b32 v48, 8 :: v_dual_mov_b32 v23, v21
	v_dual_mov_b32 v49, s14 :: v_dual_mov_b32 v50, s13
	s_delay_alu instid0(VALU_DEP_4) | instskip(SKIP_2) | instid1(SALU_CYCLE_1)
	v_dual_mov_b32 v21, v27 :: v_dual_mov_b32 v22, v28
	s_and_not1_b32 s2, s2, exec_lo
	s_and_b32 s11, s11, exec_lo
	s_or_b32 s2, s2, s11
.LBB0_214:                              ;   in Loop: Header=BB0_178 Depth=1
	s_or_b32 exec_lo, exec_lo, s3
	s_and_saveexec_b32 s3, s2
	s_cbranch_execz .LBB0_216
; %bb.215:                              ;   in Loop: Header=BB0_178 Depth=1
	v_add_f64 v[21:22], v[21:22], -v[23:24]
	v_mov_b32_e32 v48, v49
	s_delay_alu instid0(VALU_DEP_2)
	v_fma_f64 v[21:22], v[25:26], v[21:22], v[23:24]
	v_lshl_add_u32 v23, v50, 3, v67
	ds_store_b64 v23, v[21:22]
.LBB0_216:                              ;   in Loop: Header=BB0_178 Depth=1
	s_or_b32 exec_lo, exec_lo, s3
	s_mov_b32 s2, 0
	s_mov_b32 s3, exec_lo
                                        ; implicit-def: $sgpr11
                                        ; implicit-def: $sgpr12
                                        ; implicit-def: $vgpr26
                                        ; implicit-def: $vgpr27
                                        ; implicit-def: $vgpr28
                                        ; implicit-def: $vgpr25
                                        ; implicit-def: $vgpr23_vgpr24
                                        ; implicit-def: $vgpr21_vgpr22
	v_cmpx_ngt_f64_e32 1.0, v[19:20]
	s_xor_b32 s3, exec_lo, s3
	s_cbranch_execz .LBB0_220
; %bb.217:                              ;   in Loop: Header=BB0_178 Depth=1
	s_mov_b32 s13, exec_lo
                                        ; implicit-def: $sgpr11
                                        ; implicit-def: $sgpr12
                                        ; implicit-def: $vgpr23_vgpr24
	v_cmpx_gt_f64_e32 1.0, v[17:18]
; %bb.218:                              ;   in Loop: Header=BB0_178 Depth=1
	v_add_f64 v[23:24], v[19:20], -v[17:18]
	s_mov_b32 s2, exec_lo
	s_mov_b32 s12, 2
	s_mov_b32 s11, -1
; %bb.219:                              ;   in Loop: Header=BB0_178 Depth=1
	s_or_b32 exec_lo, exec_lo, s13
	v_dual_mov_b32 v25, v48 :: v_dual_mov_b32 v22, v18
	v_dual_mov_b32 v26, v69 :: v_dual_mov_b32 v27, v70
	;; [unrolled: 1-line block ×3, first 2 shown]
	s_and_b32 s2, s2, exec_lo
                                        ; implicit-def: $vgpr19_vgpr20
.LBB0_220:                              ;   in Loop: Header=BB0_178 Depth=1
	s_or_saveexec_b32 s3, s3
	v_dual_mov_b32 v45, s11 :: v_dual_mov_b32 v46, s12
	s_xor_b32 exec_lo, exec_lo, s3
	s_cbranch_execz .LBB0_224
; %bb.221:                              ;   in Loop: Header=BB0_178 Depth=1
	v_lshl_add_u32 v21, v48, 3, v0
	v_add_nc_u32_e32 v25, -1, v48
	s_mov_b32 s11, s2
	s_mov_b32 s14, exec_lo
                                        ; implicit-def: $sgpr13
                                        ; implicit-def: $sgpr12
                                        ; implicit-def: $vgpr23_vgpr24
	ds_store_b64 v21, v[19:20] offset:80
	ds_load_b64 v[17:18], v0 offset:16
	s_waitcnt lgkmcnt(0)
	ds_store_b64 v21, v[17:18]
	ds_load_b64 v[17:18], v0 offset:176
	s_waitcnt lgkmcnt(0)
	ds_store_b64 v21, v[17:18] offset:160
	ds_load_b64 v[21:22], v0 offset:88
                                        ; implicit-def: $vgpr17_vgpr18
	s_waitcnt lgkmcnt(0)
	v_cmpx_le_f64_e32 1.0, v[21:22]
	s_cbranch_execz .LBB0_223
; %bb.222:                              ;   in Loop: Header=BB0_178 Depth=1
	ds_load_b64 v[17:18], v0 offset:96
	s_mov_b32 s12, 1
	s_mov_b32 s13, -2
	s_or_b32 s11, s2, exec_lo
	s_waitcnt lgkmcnt(0)
	v_add_f64 v[23:24], v[21:22], -v[17:18]
                                        ; implicit-def: $vgpr21_vgpr22
.LBB0_223:                              ;   in Loop: Header=BB0_178 Depth=1
	s_or_b32 exec_lo, exec_lo, s14
	v_dual_mov_b32 v45, s13 :: v_dual_mov_b32 v46, s12
	v_dual_mov_b32 v26, v71 :: v_dual_mov_b32 v27, v68
	v_mov_b32_e32 v28, v70
	s_and_not1_b32 s2, s2, exec_lo
	s_and_b32 s11, s11, exec_lo
	s_delay_alu instid0(SALU_CYCLE_1)
	s_or_b32 s2, s2, s11
.LBB0_224:                              ;   in Loop: Header=BB0_178 Depth=1
	s_or_b32 exec_lo, exec_lo, s3
	s_and_saveexec_b32 s3, s2
	s_cbranch_execz .LBB0_226
; %bb.225:                              ;   in Loop: Header=BB0_178 Depth=1
	v_add_f64 v[17:18], -v[17:18], 1.0
	v_lshl_add_u32 v25, v25, 3, v0
	v_mov_b32_e32 v44, v77
	ds_store_b64 v25, v[43:44] offset:80
	v_div_scale_f64 v[19:20], null, v[23:24], v[23:24], v[17:18]
	v_div_scale_f64 v[51:52], vcc_lo, v[17:18], v[23:24], v[17:18]
	s_delay_alu instid0(VALU_DEP_2) | instskip(SKIP_2) | instid1(VALU_DEP_1)
	v_rcp_f64_e32 v[21:22], v[19:20]
	s_waitcnt_depctr 0xfff
	v_fma_f64 v[49:50], -v[19:20], v[21:22], 1.0
	v_fma_f64 v[21:22], v[21:22], v[49:50], v[21:22]
	s_delay_alu instid0(VALU_DEP_1) | instskip(NEXT) | instid1(VALU_DEP_1)
	v_fma_f64 v[49:50], -v[19:20], v[21:22], 1.0
	v_fma_f64 v[21:22], v[21:22], v[49:50], v[21:22]
	s_delay_alu instid0(VALU_DEP_1) | instskip(NEXT) | instid1(VALU_DEP_1)
	v_mul_f64 v[49:50], v[51:52], v[21:22]
	v_fma_f64 v[19:20], -v[19:20], v[49:50], v[51:52]
	s_delay_alu instid0(VALU_DEP_1)
	v_div_fmas_f64 v[19:20], v[19:20], v[21:22], v[49:50]
	ds_load_b64 v[21:22], v28
	ds_load_b64 v[27:28], v27
	s_waitcnt lgkmcnt(0)
	v_add_f64 v[27:28], v[27:28], -v[21:22]
	v_div_fixup_f64 v[17:18], v[19:20], v[23:24], v[17:18]
	s_delay_alu instid0(VALU_DEP_1)
	v_fma_f64 v[19:20], v[17:18], v[27:28], v[21:22]
	v_lshl_add_u32 v21, v46, 3, v67
	ds_store_b64 v25, v[19:20]
	ds_load_b64 v[19:20], v26
	ds_load_b64 v[21:22], v21
	s_waitcnt lgkmcnt(0)
	v_add_f64 v[21:22], v[21:22], -v[19:20]
	s_delay_alu instid0(VALU_DEP_1)
	v_fma_f64 v[17:18], v[17:18], v[21:22], v[19:20]
	ds_store_b64 v25, v[17:18] offset:160
	ds_load_b64 v[21:22], v0 offset:88
	v_add_nc_u32_e32 v25, v45, v48
.LBB0_226:                              ;   in Loop: Header=BB0_178 Depth=1
	s_or_b32 exec_lo, exec_lo, s3
	s_mov_b32 s2, 0
	s_mov_b32 s3, exec_lo
                                        ; implicit-def: $sgpr11
                                        ; implicit-def: $sgpr12
                                        ; implicit-def: $vgpr24
                                        ; implicit-def: $vgpr26
                                        ; implicit-def: $vgpr27
                                        ; implicit-def: $vgpr23
                                        ; implicit-def: $vgpr17_vgpr18
                                        ; implicit-def: $vgpr19_vgpr20
	s_waitcnt lgkmcnt(0)
	v_cmpx_ngt_f64_e32 1.0, v[21:22]
	s_xor_b32 s3, exec_lo, s3
	s_cbranch_execz .LBB0_230
; %bb.227:                              ;   in Loop: Header=BB0_178 Depth=1
	ds_load_b64 v[19:20], v66
	s_mov_b32 s13, exec_lo
                                        ; implicit-def: $sgpr11
                                        ; implicit-def: $sgpr12
                                        ; implicit-def: $vgpr17_vgpr18
	s_waitcnt lgkmcnt(0)
	v_cmpx_gt_f64_e32 1.0, v[19:20]
; %bb.228:                              ;   in Loop: Header=BB0_178 Depth=1
	v_add_f64 v[17:18], v[21:22], -v[19:20]
	s_mov_b32 s2, exec_lo
	s_mov_b32 s12, 1
	s_mov_b32 s11, -1
; %bb.229:                              ;   in Loop: Header=BB0_178 Depth=1
	s_or_b32 exec_lo, exec_lo, s13
	v_dual_mov_b32 v24, v67 :: v_dual_mov_b32 v27, v0
	v_dual_mov_b32 v26, v68 :: v_dual_mov_b32 v23, v25
	s_and_b32 s2, s2, exec_lo
                                        ; implicit-def: $vgpr21_vgpr22
.LBB0_230:                              ;   in Loop: Header=BB0_178 Depth=1
	s_or_saveexec_b32 s3, s3
	v_dual_mov_b32 v28, s11 :: v_dual_mov_b32 v45, s12
	s_xor_b32 exec_lo, exec_lo, s3
	s_cbranch_execz .LBB0_234
; %bb.231:                              ;   in Loop: Header=BB0_178 Depth=1
	v_lshl_add_u32 v19, v25, 3, v0
	v_add_nc_u32_e32 v23, -1, v25
	s_mov_b32 s11, s2
	s_mov_b32 s14, exec_lo
                                        ; implicit-def: $sgpr13
                                        ; implicit-def: $sgpr12
	ds_store_b64 v19, v[21:22] offset:80
	ds_load_b64 v[17:18], v0 offset:8
	s_waitcnt lgkmcnt(0)
	ds_store_b64 v19, v[17:18]
	ds_load_b64 v[17:18], v0 offset:168
	s_waitcnt lgkmcnt(0)
	ds_store_b64 v19, v[17:18] offset:160
	ds_load_b64 v[21:22], v0 offset:80
                                        ; implicit-def: $vgpr17_vgpr18
                                        ; implicit-def: $vgpr19_vgpr20
	s_waitcnt lgkmcnt(0)
	v_cmpx_le_f64_e32 1.0, v[21:22]
	s_cbranch_execz .LBB0_233
; %bb.232:                              ;   in Loop: Header=BB0_178 Depth=1
	ds_load_b64 v[19:20], v0 offset:88
	s_mov_b32 s12, 0
	s_mov_b32 s13, -2
	s_or_b32 s11, s2, exec_lo
	s_waitcnt lgkmcnt(0)
	v_add_f64 v[17:18], v[21:22], -v[19:20]
.LBB0_233:                              ;   in Loop: Header=BB0_178 Depth=1
	s_or_b32 exec_lo, exec_lo, s14
	v_dual_mov_b32 v28, s13 :: v_dual_mov_b32 v45, s12
	v_dual_mov_b32 v24, v69 :: v_dual_mov_b32 v27, v68
	v_mov_b32_e32 v26, v0
	s_and_not1_b32 s2, s2, exec_lo
	s_and_b32 s11, s11, exec_lo
	s_delay_alu instid0(SALU_CYCLE_1)
	s_or_b32 s2, s2, s11
.LBB0_234:                              ;   in Loop: Header=BB0_178 Depth=1
	s_or_b32 exec_lo, exec_lo, s3
	s_and_saveexec_b32 s3, s2
	s_cbranch_execz .LBB0_236
; %bb.235:                              ;   in Loop: Header=BB0_178 Depth=1
	v_add_f64 v[19:20], -v[19:20], 1.0
	v_mov_b32_e32 v44, v77
	s_delay_alu instid0(VALU_DEP_2) | instskip(SKIP_1) | instid1(VALU_DEP_2)
	v_div_scale_f64 v[21:22], null, v[17:18], v[17:18], v[19:20]
	v_div_scale_f64 v[50:51], vcc_lo, v[19:20], v[17:18], v[19:20]
	v_rcp_f64_e32 v[46:47], v[21:22]
	s_waitcnt_depctr 0xfff
	v_fma_f64 v[48:49], -v[21:22], v[46:47], 1.0
	s_delay_alu instid0(VALU_DEP_1) | instskip(NEXT) | instid1(VALU_DEP_1)
	v_fma_f64 v[46:47], v[46:47], v[48:49], v[46:47]
	v_fma_f64 v[48:49], -v[21:22], v[46:47], 1.0
	s_delay_alu instid0(VALU_DEP_1) | instskip(NEXT) | instid1(VALU_DEP_1)
	v_fma_f64 v[46:47], v[46:47], v[48:49], v[46:47]
	v_mul_f64 v[48:49], v[50:51], v[46:47]
	s_delay_alu instid0(VALU_DEP_1) | instskip(NEXT) | instid1(VALU_DEP_1)
	v_fma_f64 v[21:22], -v[21:22], v[48:49], v[50:51]
	v_div_fmas_f64 v[21:22], v[21:22], v[46:47], v[48:49]
	v_lshl_add_u32 v48, v23, 3, v0
	v_add_nc_u32_e32 v23, v28, v25
	ds_store_b64 v48, v[43:44] offset:80
	ds_load_b64 v[46:47], v27
	ds_load_b64 v[26:27], v26
	s_waitcnt lgkmcnt(0)
	v_add_f64 v[26:27], v[26:27], -v[46:47]
	v_div_fixup_f64 v[17:18], v[21:22], v[17:18], v[19:20]
	v_lshl_add_u32 v21, v45, 3, v67
	s_delay_alu instid0(VALU_DEP_2)
	v_fma_f64 v[19:20], v[17:18], v[26:27], v[46:47]
	ds_store_b64 v48, v[19:20]
	ds_load_b64 v[19:20], v24
	ds_load_b64 v[21:22], v21
	s_waitcnt lgkmcnt(0)
	v_add_f64 v[21:22], v[21:22], -v[19:20]
	s_delay_alu instid0(VALU_DEP_1)
	v_fma_f64 v[17:18], v[17:18], v[21:22], v[19:20]
	ds_store_b64 v48, v[17:18] offset:160
.LBB0_236:                              ;   in Loop: Header=BB0_178 Depth=1
	s_or_b32 exec_lo, exec_lo, s3
	v_add_nc_u32_e32 v17, 1, v23
	v_mov_b32_e32 v45, 0
	s_mov_b32 s2, exec_lo
	s_delay_alu instid0(VALU_DEP_2)
	v_cmpx_ne_u32_e32 10, v17
	s_cbranch_execz .LBB0_250
; %bb.237:                              ;   in Loop: Header=BB0_178 Depth=1
	v_add_co_u32 v19, s3, v23, -9
	v_dual_mov_b32 v18, v43 :: v_dual_mov_b32 v21, 9
	v_lshl_add_u32 v28, v23, 3, v0
	v_add_co_ci_u32_e64 v20, null, 0, -1, s3
	v_dual_mov_b32 v22, 0 :: v_dual_mov_b32 v45, 0
	s_mov_b32 s3, 0
	s_branch .LBB0_239
.LBB0_238:                              ;   in Loop: Header=BB0_239 Depth=2
	s_or_b32 exec_lo, exec_lo, s12
	v_add_co_u32 v19, vcc_lo, v19, 1
	v_add_co_ci_u32_e32 v20, vcc_lo, 0, v20, vcc_lo
	v_add_co_u32 v23, vcc_lo, v17, 1
	v_add_co_ci_u32_e32 v24, vcc_lo, 0, v18, vcc_lo
	s_delay_alu instid0(VALU_DEP_3) | instskip(SKIP_2) | instid1(VALU_DEP_4)
	v_cmp_eq_u64_e32 vcc_lo, 0, v[19:20]
	v_mov_b32_e32 v22, v18
	v_dual_mov_b32 v21, v17 :: v_dual_add_nc_u32 v28, 8, v28
	v_dual_mov_b32 v17, v23 :: v_dual_mov_b32 v18, v24
	s_or_b32 s3, vcc_lo, s3
	s_delay_alu instid0(SALU_CYCLE_1)
	s_and_not1_b32 exec_lo, exec_lo, s3
	s_cbranch_execz .LBB0_249
.LBB0_239:                              ;   Parent Loop BB0_178 Depth=1
                                        ; =>  This Inner Loop Header: Depth=2
	v_lshl_add_u32 v46, v21, 3, v0
	s_mov_b32 s11, 0
	s_mov_b32 s12, exec_lo
                                        ; implicit-def: $vgpr26
                                        ; implicit-def: $vgpr22_vgpr23
                                        ; implicit-def: $vgpr44
	ds_load_b64 v[24:25], v46 offset:80
	s_waitcnt lgkmcnt(0)
	v_cmpx_le_f64_e32 0, v[24:25]
	s_xor_b32 s12, exec_lo, s12
	s_cbranch_execnz .LBB0_242
; %bb.240:                              ;   in Loop: Header=BB0_239 Depth=2
	s_and_not1_saveexec_b32 s12, s12
	s_cbranch_execnz .LBB0_245
.LBB0_241:                              ;   in Loop: Header=BB0_239 Depth=2
	s_or_b32 exec_lo, exec_lo, s12
	s_and_saveexec_b32 s12, s11
	s_cbranch_execz .LBB0_238
	s_branch .LBB0_248
.LBB0_242:                              ;   in Loop: Header=BB0_239 Depth=2
	v_lshl_add_u32 v27, v45, 3, v0
	v_add_nc_u32_e32 v26, 1, v45
	s_mov_b32 s13, exec_lo
                                        ; implicit-def: $vgpr44
	ds_store_b64 v27, v[24:25] offset:80
	ds_load_b64 v[21:22], v46
	s_waitcnt lgkmcnt(0)
	ds_store_b64 v27, v[21:22]
	ds_load_b64 v[21:22], v46 offset:160
	s_waitcnt lgkmcnt(0)
	ds_store_b64 v27, v[21:22] offset:160
	ds_load_b64 v[24:25], v28 offset:88
                                        ; implicit-def: $vgpr22_vgpr23
                                        ; implicit-def: $vgpr21
	s_waitcnt lgkmcnt(0)
	v_cmpx_gt_f64_e32 0, v[24:25]
	s_cbranch_execz .LBB0_244
; %bb.243:                              ;   in Loop: Header=BB0_239 Depth=2
	ds_load_b64 v[21:22], v46 offset:80
	v_add_f64 v[47:48], -v[24:25], 0
	v_mov_b32_e32 v44, v43
	s_mov_b32 s11, exec_lo
	s_waitcnt lgkmcnt(0)
	v_add_f64 v[21:22], v[21:22], -v[24:25]
	v_lshl_add_u32 v25, v45, 3, v72
	s_delay_alu instid0(VALU_DEP_2) | instskip(SKIP_1) | instid1(VALU_DEP_2)
	v_div_scale_f64 v[23:24], null, v[21:22], v[21:22], v[47:48]
	v_div_scale_f64 v[53:54], vcc_lo, v[47:48], v[21:22], v[47:48]
	v_rcp_f64_e32 v[49:50], v[23:24]
	s_waitcnt_depctr 0xfff
	v_fma_f64 v[51:52], -v[23:24], v[49:50], 1.0
	s_delay_alu instid0(VALU_DEP_1) | instskip(NEXT) | instid1(VALU_DEP_1)
	v_fma_f64 v[49:50], v[49:50], v[51:52], v[49:50]
	v_fma_f64 v[51:52], -v[23:24], v[49:50], 1.0
	s_delay_alu instid0(VALU_DEP_1) | instskip(NEXT) | instid1(VALU_DEP_1)
	v_fma_f64 v[49:50], v[49:50], v[51:52], v[49:50]
	v_mul_f64 v[51:52], v[53:54], v[49:50]
	s_delay_alu instid0(VALU_DEP_1) | instskip(NEXT) | instid1(VALU_DEP_1)
	v_fma_f64 v[23:24], -v[23:24], v[51:52], v[53:54]
	v_div_fmas_f64 v[23:24], v[23:24], v[49:50], v[51:52]
	s_delay_alu instid0(VALU_DEP_1)
	v_div_fixup_f64 v[22:23], v[23:24], v[21:22], v[47:48]
	v_add_nc_u32_e32 v21, 10, v19
	ds_store_b64 v25, v[43:44]
	ds_load_b64 v[44:45], v28 offset:8
	ds_load_b64 v[49:50], v46
	s_waitcnt lgkmcnt(0)
	v_add_f64 v[24:25], v[49:50], -v[44:45]
	s_delay_alu instid0(VALU_DEP_1)
	v_fma_f64 v[24:25], v[22:23], v[24:25], v[44:45]
	v_add_nc_u32_e32 v44, 0xa0, v46
	ds_store_b64 v27, v[24:25] offset:8
.LBB0_244:                              ;   in Loop: Header=BB0_239 Depth=2
	s_or_b32 exec_lo, exec_lo, s13
	v_mov_b32_e32 v45, v26
	s_and_b32 s11, s11, exec_lo
                                        ; implicit-def: $vgpr24_vgpr25
                                        ; implicit-def: $vgpr46
	s_and_not1_saveexec_b32 s12, s12
	s_cbranch_execz .LBB0_241
.LBB0_245:                              ;   in Loop: Header=BB0_239 Depth=2
	ds_load_b64 v[26:27], v28 offset:88
	s_mov_b32 s14, s11
	s_mov_b32 s13, exec_lo
                                        ; implicit-def: $vgpr22_vgpr23
                                        ; implicit-def: $vgpr44
	s_waitcnt lgkmcnt(0)
	v_cmpx_le_f64_e32 0, v[26:27]
	s_cbranch_execz .LBB0_247
; %bb.246:                              ;   in Loop: Header=BB0_239 Depth=2
	v_add_f64 v[22:23], v[26:27], -v[24:25]
	v_add_f64 v[24:25], -v[24:25], 0
	v_mov_b32_e32 v44, v43
	s_or_b32 s14, s11, exec_lo
	s_delay_alu instid0(VALU_DEP_2) | instskip(SKIP_1) | instid1(VALU_DEP_2)
	v_div_scale_f64 v[26:27], null, v[22:23], v[22:23], v[24:25]
	v_div_scale_f64 v[51:52], vcc_lo, v[24:25], v[22:23], v[24:25]
	v_rcp_f64_e32 v[47:48], v[26:27]
	s_waitcnt_depctr 0xfff
	v_fma_f64 v[49:50], -v[26:27], v[47:48], 1.0
	s_delay_alu instid0(VALU_DEP_1) | instskip(NEXT) | instid1(VALU_DEP_1)
	v_fma_f64 v[47:48], v[47:48], v[49:50], v[47:48]
	v_fma_f64 v[49:50], -v[26:27], v[47:48], 1.0
	s_delay_alu instid0(VALU_DEP_1) | instskip(NEXT) | instid1(VALU_DEP_1)
	v_fma_f64 v[47:48], v[47:48], v[49:50], v[47:48]
	v_mul_f64 v[49:50], v[51:52], v[47:48]
	s_delay_alu instid0(VALU_DEP_1) | instskip(NEXT) | instid1(VALU_DEP_1)
	v_fma_f64 v[26:27], -v[26:27], v[49:50], v[51:52]
	v_div_fmas_f64 v[26:27], v[26:27], v[47:48], v[49:50]
	v_lshl_add_u32 v50, v45, 3, v0
	ds_store_b64 v50, v[43:44] offset:80
	ds_load_b64 v[46:47], v46
	ds_load_b64 v[48:49], v28 offset:8
	v_add_nc_u32_e32 v44, 0xa8, v28
	v_div_fixup_f64 v[22:23], v[26:27], v[22:23], v[24:25]
	s_waitcnt lgkmcnt(0)
	v_add_f64 v[24:25], v[48:49], -v[46:47]
	s_delay_alu instid0(VALU_DEP_1)
	v_fma_f64 v[24:25], v[22:23], v[24:25], v[46:47]
	ds_store_b64 v50, v[24:25]
.LBB0_247:                              ;   in Loop: Header=BB0_239 Depth=2
	s_or_b32 exec_lo, exec_lo, s13
	v_mov_b32_e32 v26, v45
	s_and_not1_b32 s11, s11, exec_lo
	s_and_b32 s13, s14, exec_lo
	s_delay_alu instid0(SALU_CYCLE_1)
	s_or_b32 s11, s11, s13
	s_or_b32 exec_lo, exec_lo, s12
	s_and_saveexec_b32 s12, s11
	s_cbranch_execz .LBB0_238
.LBB0_248:                              ;   in Loop: Header=BB0_239 Depth=2
	v_lshl_add_u32 v21, v21, 3, v67
	ds_load_b64 v[24:25], v21
	ds_load_b64 v[44:45], v44
	s_waitcnt lgkmcnt(0)
	v_add_f64 v[44:45], v[44:45], -v[24:25]
	s_delay_alu instid0(VALU_DEP_1)
	v_fma_f64 v[21:22], v[22:23], v[44:45], v[24:25]
	v_lshl_add_u32 v23, v26, 3, v67
	v_add_nc_u32_e32 v45, 1, v26
	ds_store_b64 v23, v[21:22]
	s_branch .LBB0_238
.LBB0_249:                              ;   in Loop: Header=BB0_178 Depth=1
	s_or_b32 exec_lo, exec_lo, s3
.LBB0_250:                              ;   in Loop: Header=BB0_178 Depth=1
	s_delay_alu instid0(SALU_CYCLE_1)
	s_or_b32 exec_lo, exec_lo, s2
	v_mov_b32_e32 v18, 0
	s_mov_b32 s3, 0
	s_mov_b32 s2, exec_lo
	v_cmpx_ne_u32_e32 0, v45
	s_cbranch_execz .LBB0_264
; %bb.251:                              ;   in Loop: Header=BB0_178 Depth=1
	v_add_nc_u32_e32 v17, -1, v45
	v_mov_b32_e32 v21, 0
	v_mov_b32_e32 v22, 0
	v_lshl_add_u32 v28, v45, 3, v73
	v_mov_b32_e32 v45, 9
	v_ashrrev_i32_e32 v18, 31, v17
	v_add_co_u32 v19, vcc_lo, v17, 1
	s_delay_alu instid0(VALU_DEP_2)
	v_add_co_ci_u32_e32 v20, vcc_lo, 0, v18, vcc_lo
	s_branch .LBB0_253
.LBB0_252:                              ;   in Loop: Header=BB0_253 Depth=2
	s_or_b32 exec_lo, exec_lo, s12
	v_add_co_u32 v19, vcc_lo, v19, -1
	v_add_co_ci_u32_e32 v20, vcc_lo, -1, v20, vcc_lo
	v_add_co_u32 v23, vcc_lo, v17, -1
	v_add_co_ci_u32_e32 v24, vcc_lo, -1, v18, vcc_lo
	s_delay_alu instid0(VALU_DEP_3)
	v_cmp_eq_u64_e32 vcc_lo, 0, v[19:20]
	v_mov_b32_e32 v22, v18
	v_dual_mov_b32 v21, v17 :: v_dual_add_nc_u32 v28, -8, v28
	v_mov_b32_e32 v17, v23
	v_dual_mov_b32 v45, v26 :: v_dual_mov_b32 v18, v24
	s_or_b32 s3, vcc_lo, s3
	s_delay_alu instid0(SALU_CYCLE_1)
	s_and_not1_b32 exec_lo, exec_lo, s3
	s_cbranch_execz .LBB0_263
.LBB0_253:                              ;   Parent Loop BB0_178 Depth=1
                                        ; =>  This Inner Loop Header: Depth=2
	v_lshl_add_u32 v46, v21, 3, v0
	s_mov_b32 s11, 0
	s_mov_b32 s12, exec_lo
                                        ; implicit-def: $sgpr13
                                        ; implicit-def: $vgpr26
                                        ; implicit-def: $vgpr22_vgpr23
                                        ; implicit-def: $vgpr44
	ds_load_b64 v[24:25], v46
	s_waitcnt lgkmcnt(0)
	v_cmpx_ngt_f64_e32 1.0, v[24:25]
	s_xor_b32 s12, exec_lo, s12
	s_cbranch_execnz .LBB0_256
; %bb.254:                              ;   in Loop: Header=BB0_253 Depth=2
	s_or_saveexec_b32 s12, s12
	v_mov_b32_e32 v27, s13
	s_xor_b32 exec_lo, exec_lo, s12
	s_cbranch_execnz .LBB0_259
.LBB0_255:                              ;   in Loop: Header=BB0_253 Depth=2
	s_or_b32 exec_lo, exec_lo, s12
	s_and_saveexec_b32 s12, s11
	s_cbranch_execz .LBB0_252
	s_branch .LBB0_262
.LBB0_256:                              ;   in Loop: Header=BB0_253 Depth=2
	ds_load_b64 v[26:27], v28
	s_mov_b32 s14, exec_lo
                                        ; implicit-def: $sgpr13
                                        ; implicit-def: $vgpr22_vgpr23
                                        ; implicit-def: $vgpr44
	s_waitcnt lgkmcnt(0)
	v_cmpx_gt_f64_e32 1.0, v[26:27]
	s_xor_b32 s14, exec_lo, s14
	s_cbranch_execz .LBB0_258
; %bb.257:                              ;   in Loop: Header=BB0_253 Depth=2
	v_add_f64 v[22:23], v[24:25], -v[26:27]
	v_add_f64 v[24:25], -v[26:27], 1.0
	v_mov_b32_e32 v44, v77
	s_mov_b32 s11, exec_lo
	s_mov_b32 s13, -1
	s_delay_alu instid0(VALU_DEP_2) | instskip(SKIP_1) | instid1(VALU_DEP_2)
	v_div_scale_f64 v[26:27], null, v[22:23], v[22:23], v[24:25]
	v_div_scale_f64 v[51:52], vcc_lo, v[24:25], v[22:23], v[24:25]
	v_rcp_f64_e32 v[47:48], v[26:27]
	s_waitcnt_depctr 0xfff
	v_fma_f64 v[49:50], -v[26:27], v[47:48], 1.0
	s_delay_alu instid0(VALU_DEP_1) | instskip(NEXT) | instid1(VALU_DEP_1)
	v_fma_f64 v[47:48], v[47:48], v[49:50], v[47:48]
	v_fma_f64 v[49:50], -v[26:27], v[47:48], 1.0
	s_delay_alu instid0(VALU_DEP_1) | instskip(NEXT) | instid1(VALU_DEP_1)
	v_fma_f64 v[47:48], v[47:48], v[49:50], v[47:48]
	v_mul_f64 v[49:50], v[51:52], v[47:48]
	s_delay_alu instid0(VALU_DEP_1)
	v_fma_f64 v[26:27], -v[26:27], v[49:50], v[51:52]
	v_lshl_add_u32 v51, v45, 3, v0
	ds_store_b64 v51, v[43:44]
	v_add_nc_u32_e32 v44, 0xa0, v28
	v_div_fmas_f64 v[26:27], v[26:27], v[47:48], v[49:50]
	ds_load_b64 v[47:48], v28 offset:80
	ds_load_b64 v[49:50], v46 offset:80
	v_div_fixup_f64 v[22:23], v[26:27], v[22:23], v[24:25]
	s_waitcnt lgkmcnt(0)
	v_add_f64 v[24:25], v[49:50], -v[47:48]
	s_delay_alu instid0(VALU_DEP_1)
	v_fma_f64 v[24:25], v[22:23], v[24:25], v[47:48]
	ds_store_b64 v51, v[24:25] offset:80
.LBB0_258:                              ;   in Loop: Header=BB0_253 Depth=2
	s_or_b32 exec_lo, exec_lo, s14
	v_mov_b32_e32 v26, v45
	s_and_b32 s11, s11, exec_lo
                                        ; implicit-def: $vgpr24_vgpr25
                                        ; implicit-def: $vgpr46
	s_or_saveexec_b32 s12, s12
	v_mov_b32_e32 v27, s13
	s_xor_b32 exec_lo, exec_lo, s12
	s_cbranch_execz .LBB0_255
.LBB0_259:                              ;   in Loop: Header=BB0_253 Depth=2
	v_lshl_add_u32 v27, v45, 3, v0
	v_add_nc_u32_e32 v26, -1, v45
	s_mov_b32 s14, s11
	s_mov_b32 s13, exec_lo
                                        ; implicit-def: $sgpr15
                                        ; implicit-def: $vgpr44
	ds_store_b64 v27, v[24:25]
	ds_load_b64 v[21:22], v46 offset:80
	s_waitcnt lgkmcnt(0)
	ds_store_b64 v27, v[21:22] offset:80
	ds_load_b64 v[21:22], v46 offset:160
	s_waitcnt lgkmcnt(0)
	ds_store_b64 v27, v[21:22] offset:160
	ds_load_b64 v[24:25], v28
                                        ; implicit-def: $vgpr22_vgpr23
                                        ; implicit-def: $vgpr21
	s_waitcnt lgkmcnt(0)
	v_cmpx_le_f64_e32 1.0, v[24:25]
	s_cbranch_execz .LBB0_261
; %bb.260:                              ;   in Loop: Header=BB0_253 Depth=2
	ds_load_b64 v[21:22], v46
	s_mov_b32 s15, -2
	s_or_b32 s14, s11, exec_lo
	v_mov_b32_e32 v44, v77
	s_waitcnt lgkmcnt(0)
	v_add_f64 v[23:24], v[24:25], -v[21:22]
	v_add_f64 v[21:22], -v[21:22], 1.0
	v_add_nc_u32_e32 v25, -8, v27
	ds_store_b64 v25, v[43:44]
	v_add_nc_u32_e32 v44, 0xa0, v46
	v_div_scale_f64 v[47:48], null, v[23:24], v[23:24], v[21:22]
	v_div_scale_f64 v[53:54], vcc_lo, v[21:22], v[23:24], v[21:22]
	s_delay_alu instid0(VALU_DEP_2) | instskip(SKIP_2) | instid1(VALU_DEP_1)
	v_rcp_f64_e32 v[49:50], v[47:48]
	s_waitcnt_depctr 0xfff
	v_fma_f64 v[51:52], -v[47:48], v[49:50], 1.0
	v_fma_f64 v[49:50], v[49:50], v[51:52], v[49:50]
	s_delay_alu instid0(VALU_DEP_1) | instskip(NEXT) | instid1(VALU_DEP_1)
	v_fma_f64 v[51:52], -v[47:48], v[49:50], 1.0
	v_fma_f64 v[49:50], v[49:50], v[51:52], v[49:50]
	s_delay_alu instid0(VALU_DEP_1) | instskip(NEXT) | instid1(VALU_DEP_1)
	v_mul_f64 v[51:52], v[53:54], v[49:50]
	v_fma_f64 v[47:48], -v[47:48], v[51:52], v[53:54]
	s_delay_alu instid0(VALU_DEP_1)
	v_div_fmas_f64 v[47:48], v[47:48], v[49:50], v[51:52]
	ds_load_b64 v[49:50], v46 offset:80
	ds_load_b64 v[51:52], v28 offset:80
	v_div_fixup_f64 v[22:23], v[47:48], v[23:24], v[21:22]
	v_mov_b32_e32 v21, v17
	s_waitcnt lgkmcnt(0)
	v_add_f64 v[24:25], v[51:52], -v[49:50]
	s_delay_alu instid0(VALU_DEP_1)
	v_fma_f64 v[24:25], v[22:23], v[24:25], v[49:50]
	ds_store_b64 v27, v[24:25] offset:72
.LBB0_261:                              ;   in Loop: Header=BB0_253 Depth=2
	s_or_b32 exec_lo, exec_lo, s13
	v_mov_b32_e32 v27, s15
	s_and_not1_b32 s11, s11, exec_lo
	s_and_b32 s13, s14, exec_lo
	s_delay_alu instid0(SALU_CYCLE_1)
	s_or_b32 s11, s11, s13
	s_or_b32 exec_lo, exec_lo, s12
	s_and_saveexec_b32 s12, s11
	s_cbranch_execz .LBB0_252
.LBB0_262:                              ;   in Loop: Header=BB0_253 Depth=2
	v_lshl_add_u32 v21, v21, 3, v67
	ds_load_b64 v[24:25], v44
	ds_load_b64 v[46:47], v21
	s_waitcnt lgkmcnt(0)
	v_add_f64 v[46:47], v[46:47], -v[24:25]
	s_delay_alu instid0(VALU_DEP_1)
	v_fma_f64 v[21:22], v[22:23], v[46:47], v[24:25]
	v_lshl_add_u32 v23, v26, 3, v67
	v_add_nc_u32_e32 v26, v27, v45
	ds_store_b64 v23, v[21:22]
	s_branch .LBB0_252
.LBB0_263:                              ;   in Loop: Header=BB0_178 Depth=1
	s_or_b32 exec_lo, exec_lo, s3
	v_add_nc_u32_e32 v18, -9, v26
.LBB0_264:                              ;   in Loop: Header=BB0_178 Depth=1
	s_or_b32 exec_lo, exec_lo, s2
	v_mov_b32_e32 v25, 0
	s_mov_b32 s3, 0
	s_mov_b32 s2, exec_lo
	v_cmpx_ne_u32_e32 0, v18
	s_cbranch_execz .LBB0_278
; %bb.265:                              ;   in Loop: Header=BB0_178 Depth=1
	v_add_nc_u32_e32 v17, 10, v18
	v_mov_b32_e32 v21, 9
	v_mov_b32_e32 v22, 0
	v_lshl_add_u32 v24, v18, 3, v0
	v_mov_b32_e32 v25, 0
	v_ashrrev_i32_e32 v18, 31, v17
	v_add_co_u32 v19, vcc_lo, v17, -10
	s_delay_alu instid0(VALU_DEP_2)
	v_add_co_ci_u32_e32 v20, vcc_lo, -1, v18, vcc_lo
	s_branch .LBB0_267
.LBB0_266:                              ;   in Loop: Header=BB0_267 Depth=2
	s_or_b32 exec_lo, exec_lo, s12
	v_add_co_u32 v19, vcc_lo, v19, 1
	v_add_co_ci_u32_e32 v20, vcc_lo, 0, v20, vcc_lo
	v_add_co_u32 v26, vcc_lo, v17, 1
	v_add_co_ci_u32_e32 v27, vcc_lo, 0, v18, vcc_lo
	s_delay_alu instid0(VALU_DEP_3) | instskip(SKIP_2) | instid1(VALU_DEP_4)
	v_cmp_eq_u64_e32 vcc_lo, 0, v[19:20]
	v_mov_b32_e32 v22, v18
	v_dual_mov_b32 v21, v17 :: v_dual_add_nc_u32 v24, 8, v24
	v_dual_mov_b32 v17, v26 :: v_dual_mov_b32 v18, v27
	s_or_b32 s3, vcc_lo, s3
	s_delay_alu instid0(SALU_CYCLE_1)
	s_and_not1_b32 exec_lo, exec_lo, s3
	s_cbranch_execz .LBB0_277
.LBB0_267:                              ;   Parent Loop BB0_178 Depth=1
                                        ; =>  This Inner Loop Header: Depth=2
	v_lshl_add_u32 v46, v21, 3, v0
	s_mov_b32 s11, 0
	s_mov_b32 s12, exec_lo
                                        ; implicit-def: $vgpr28
                                        ; implicit-def: $vgpr22_vgpr23
                                        ; implicit-def: $vgpr47
	ds_load_b64 v[26:27], v46
	s_waitcnt lgkmcnt(0)
	v_cmpx_le_f64_e32 0, v[26:27]
	s_xor_b32 s12, exec_lo, s12
	s_cbranch_execnz .LBB0_270
; %bb.268:                              ;   in Loop: Header=BB0_267 Depth=2
	s_and_not1_saveexec_b32 s12, s12
	s_cbranch_execnz .LBB0_273
.LBB0_269:                              ;   in Loop: Header=BB0_267 Depth=2
	s_or_b32 exec_lo, exec_lo, s12
	s_and_saveexec_b32 s12, s11
	s_cbranch_execz .LBB0_266
	s_branch .LBB0_276
.LBB0_270:                              ;   in Loop: Header=BB0_267 Depth=2
	v_lshl_add_u32 v45, v25, 3, v0
	v_add_nc_u32_e32 v28, 1, v25
	s_mov_b32 s13, exec_lo
                                        ; implicit-def: $vgpr47
	ds_store_b64 v45, v[26:27]
	ds_load_b64 v[21:22], v46 offset:80
	s_waitcnt lgkmcnt(0)
	ds_store_b64 v45, v[21:22] offset:80
	ds_load_b64 v[21:22], v46 offset:160
	s_waitcnt lgkmcnt(0)
	ds_store_b64 v45, v[21:22] offset:160
	ds_load_b64 v[26:27], v24 offset:80
                                        ; implicit-def: $vgpr22_vgpr23
                                        ; implicit-def: $vgpr21
	s_waitcnt lgkmcnt(0)
	v_cmpx_gt_f64_e32 0, v[26:27]
	s_cbranch_execz .LBB0_272
; %bb.271:                              ;   in Loop: Header=BB0_267 Depth=2
	ds_load_b64 v[21:22], v46
	v_add_f64 v[47:48], -v[26:27], 0
	v_mov_b32_e32 v44, v43
	v_lshl_add_u32 v25, v25, 3, v72
	s_mov_b32 s11, exec_lo
	s_waitcnt lgkmcnt(0)
	v_add_f64 v[21:22], v[21:22], -v[26:27]
	s_delay_alu instid0(VALU_DEP_1) | instskip(SKIP_1) | instid1(VALU_DEP_2)
	v_div_scale_f64 v[26:27], null, v[21:22], v[21:22], v[47:48]
	v_div_scale_f64 v[53:54], vcc_lo, v[47:48], v[21:22], v[47:48]
	v_rcp_f64_e32 v[49:50], v[26:27]
	s_waitcnt_depctr 0xfff
	v_fma_f64 v[51:52], -v[26:27], v[49:50], 1.0
	s_delay_alu instid0(VALU_DEP_1) | instskip(NEXT) | instid1(VALU_DEP_1)
	v_fma_f64 v[49:50], v[49:50], v[51:52], v[49:50]
	v_fma_f64 v[51:52], -v[26:27], v[49:50], 1.0
	s_delay_alu instid0(VALU_DEP_1) | instskip(NEXT) | instid1(VALU_DEP_1)
	v_fma_f64 v[49:50], v[49:50], v[51:52], v[49:50]
	v_mul_f64 v[51:52], v[53:54], v[49:50]
	s_delay_alu instid0(VALU_DEP_1) | instskip(NEXT) | instid1(VALU_DEP_1)
	v_fma_f64 v[26:27], -v[26:27], v[51:52], v[53:54]
	v_div_fmas_f64 v[26:27], v[26:27], v[49:50], v[51:52]
	s_delay_alu instid0(VALU_DEP_1)
	v_div_fixup_f64 v[22:23], v[26:27], v[21:22], v[47:48]
	v_add_nc_u32_e32 v47, 0xa0, v46
	ds_store_b64 v45, v[43:44] offset:8
	ds_load_b64 v[44:45], v24 offset:160
	ds_load_b64 v[49:50], v46 offset:80
	v_mov_b32_e32 v21, v17
	s_waitcnt lgkmcnt(0)
	v_add_f64 v[26:27], v[49:50], -v[44:45]
	s_delay_alu instid0(VALU_DEP_1)
	v_fma_f64 v[26:27], v[22:23], v[26:27], v[44:45]
	ds_store_b64 v25, v[26:27]
.LBB0_272:                              ;   in Loop: Header=BB0_267 Depth=2
	s_or_b32 exec_lo, exec_lo, s13
	v_mov_b32_e32 v25, v28
	s_and_b32 s11, s11, exec_lo
                                        ; implicit-def: $vgpr26_vgpr27
                                        ; implicit-def: $vgpr46
	s_and_not1_saveexec_b32 s12, s12
	s_cbranch_execz .LBB0_269
.LBB0_273:                              ;   in Loop: Header=BB0_267 Depth=2
	ds_load_b64 v[44:45], v24 offset:80
	s_mov_b32 s14, s11
	s_mov_b32 s13, exec_lo
                                        ; implicit-def: $vgpr22_vgpr23
                                        ; implicit-def: $vgpr47
	s_waitcnt lgkmcnt(0)
	v_cmpx_le_f64_e32 0, v[44:45]
	s_cbranch_execz .LBB0_275
; %bb.274:                              ;   in Loop: Header=BB0_267 Depth=2
	v_add_f64 v[22:23], v[44:45], -v[26:27]
	v_add_f64 v[26:27], -v[26:27], 0
	v_lshl_add_u32 v28, v25, 3, v0
	s_or_b32 s14, s11, exec_lo
	s_delay_alu instid0(VALU_DEP_2) | instskip(SKIP_1) | instid1(VALU_DEP_2)
	v_div_scale_f64 v[44:45], null, v[22:23], v[22:23], v[26:27]
	v_div_scale_f64 v[51:52], vcc_lo, v[26:27], v[22:23], v[26:27]
	v_rcp_f64_e32 v[47:48], v[44:45]
	s_waitcnt_depctr 0xfff
	v_fma_f64 v[49:50], -v[44:45], v[47:48], 1.0
	s_delay_alu instid0(VALU_DEP_1) | instskip(NEXT) | instid1(VALU_DEP_1)
	v_fma_f64 v[47:48], v[47:48], v[49:50], v[47:48]
	v_fma_f64 v[49:50], -v[44:45], v[47:48], 1.0
	s_delay_alu instid0(VALU_DEP_1) | instskip(NEXT) | instid1(VALU_DEP_1)
	v_fma_f64 v[47:48], v[47:48], v[49:50], v[47:48]
	v_mul_f64 v[49:50], v[51:52], v[47:48]
	s_delay_alu instid0(VALU_DEP_1) | instskip(NEXT) | instid1(VALU_DEP_1)
	v_fma_f64 v[44:45], -v[44:45], v[49:50], v[51:52]
	v_div_fmas_f64 v[47:48], v[44:45], v[47:48], v[49:50]
	v_mov_b32_e32 v44, v43
	s_delay_alu instid0(VALU_DEP_2)
	v_div_fixup_f64 v[22:23], v[47:48], v[22:23], v[26:27]
	v_add_nc_u32_e32 v47, 0xf0, v24
	ds_store_b64 v28, v[43:44]
	ds_load_b64 v[44:45], v46 offset:80
	ds_load_b64 v[49:50], v24 offset:160
	s_waitcnt lgkmcnt(0)
	v_add_f64 v[26:27], v[49:50], -v[44:45]
	s_delay_alu instid0(VALU_DEP_1)
	v_fma_f64 v[26:27], v[22:23], v[26:27], v[44:45]
	ds_store_b64 v28, v[26:27] offset:80
.LBB0_275:                              ;   in Loop: Header=BB0_267 Depth=2
	s_or_b32 exec_lo, exec_lo, s13
	v_mov_b32_e32 v28, v25
	s_and_not1_b32 s11, s11, exec_lo
	s_and_b32 s13, s14, exec_lo
	s_delay_alu instid0(SALU_CYCLE_1)
	s_or_b32 s11, s11, s13
	s_or_b32 exec_lo, exec_lo, s12
	s_and_saveexec_b32 s12, s11
	s_cbranch_execz .LBB0_266
.LBB0_276:                              ;   in Loop: Header=BB0_267 Depth=2
	v_lshl_add_u32 v21, v21, 3, v67
	ds_load_b64 v[25:26], v21
	ds_load_b64 v[44:45], v47
	s_waitcnt lgkmcnt(0)
	v_add_f64 v[44:45], v[44:45], -v[25:26]
	s_delay_alu instid0(VALU_DEP_1)
	v_fma_f64 v[21:22], v[22:23], v[44:45], v[25:26]
	v_lshl_add_u32 v23, v28, 3, v67
	v_add_nc_u32_e32 v25, 1, v28
	ds_store_b64 v23, v[21:22]
	s_branch .LBB0_266
.LBB0_277:                              ;   in Loop: Header=BB0_178 Depth=1
	s_or_b32 exec_lo, exec_lo, s3
.LBB0_278:                              ;   in Loop: Header=BB0_178 Depth=1
	s_delay_alu instid0(SALU_CYCLE_1) | instskip(SKIP_2) | instid1(VALU_DEP_1)
	s_or_b32 exec_lo, exec_lo, s2
	v_ashrrev_i32_e32 v26, 31, v25
	v_cmp_lt_i32_e64 s2, 0, v25
	s_and_saveexec_b32 s3, s2
	s_cbranch_execz .LBB0_281
; %bb.279:                              ;   in Loop: Header=BB0_178 Depth=1
	s_delay_alu instid0(VALU_DEP_2)
	v_dual_mov_b32 v17, v25 :: v_dual_mov_b32 v18, v26
	v_mov_b32_e32 v19, v0
	s_mov_b32 s11, 0
	s_mov_b32 s12, s10
	.p2align	6
.LBB0_280:                              ;   Parent Loop BB0_178 Depth=1
                                        ; =>  This Inner Loop Header: Depth=2
	ds_load_2addr_b64 v[20:23], v19 offset1:10
	ds_load_b64 v[27:28], v19 offset:160
	v_add_co_u32 v17, vcc_lo, v17, -1
	v_add_co_ci_u32_e32 v18, vcc_lo, -1, v18, vcc_lo
	v_add_nc_u32_e32 v19, 8, v19
	s_add_i32 s13, s12, 64
	s_waitcnt lgkmcnt(1)
	s_clause 0x1
	scratch_store_b64 off, v[22:23], s12
	scratch_store_b64 off, v[20:21], s12 offset:-64
	v_cmp_eq_u64_e32 vcc_lo, 0, v[17:18]
	s_add_i32 s12, s12, 8
	s_waitcnt lgkmcnt(0)
	scratch_store_b64 off, v[27:28], s13
	s_or_b32 s11, vcc_lo, s11
	s_delay_alu instid0(SALU_CYCLE_1)
	s_and_not1_b32 exec_lo, exec_lo, s11
	s_cbranch_execnz .LBB0_280
.LBB0_281:                              ;   in Loop: Header=BB0_178 Depth=1
	s_or_b32 exec_lo, exec_lo, s3
	v_dual_mov_b32 v24, 9 :: v_dual_add_nc_u32 v27, -1, v25
	v_cmp_ne_u32_e64 s3, 0, v25
	s_delay_alu instid0(VALU_DEP_2) | instskip(NEXT) | instid1(VALU_DEP_2)
	v_ashrrev_i32_e32 v28, 31, v27
	s_and_saveexec_b32 s11, s3
	s_cbranch_execz .LBB0_295
; %bb.282:                              ;   in Loop: Header=BB0_178 Depth=1
	v_add_co_u32 v17, vcc_lo, v27, 1
	v_dual_mov_b32 v21, 0 :: v_dual_mov_b32 v24, 9
	v_dual_mov_b32 v22, 0 :: v_dual_mov_b32 v19, v27
	v_lshl_add_u32 v48, v25, 3, v74
	v_add_co_ci_u32_e32 v18, vcc_lo, 0, v28, vcc_lo
	v_mov_b32_e32 v20, v28
	s_mov_b32 s12, 0
	s_branch .LBB0_284
.LBB0_283:                              ;   in Loop: Header=BB0_284 Depth=2
	s_or_b32 exec_lo, exec_lo, s14
	v_add_co_u32 v17, vcc_lo, v17, -1
	v_add_co_ci_u32_e32 v18, vcc_lo, -1, v18, vcc_lo
	v_add_co_u32 v44, vcc_lo, v19, -1
	v_add_co_ci_u32_e32 v45, vcc_lo, -1, v20, vcc_lo
	s_delay_alu instid0(VALU_DEP_3) | instskip(SKIP_2) | instid1(VALU_DEP_4)
	v_cmp_eq_u64_e32 vcc_lo, 0, v[17:18]
	v_mov_b32_e32 v22, v20
	v_dual_mov_b32 v21, v19 :: v_dual_add_nc_u32 v48, -8, v48
	v_dual_mov_b32 v19, v44 :: v_dual_mov_b32 v20, v45
	s_or_b32 s12, vcc_lo, s12
	s_delay_alu instid0(SALU_CYCLE_1)
	s_and_not1_b32 exec_lo, exec_lo, s12
	s_cbranch_execz .LBB0_294
.LBB0_284:                              ;   Parent Loop BB0_178 Depth=1
                                        ; =>  This Inner Loop Header: Depth=2
	v_lshl_add_u32 v49, v21, 3, v0
	s_mov_b32 s13, 0
	s_mov_b32 s14, exec_lo
                                        ; implicit-def: $vgpr22_vgpr23
                                        ; implicit-def: $vgpr46
	ds_load_b64 v[44:45], v49 offset:160
	s_waitcnt lgkmcnt(0)
	v_cmpx_ge_f64_e32 v[44:45], v[35:36]
	s_xor_b32 s14, exec_lo, s14
	s_cbranch_execnz .LBB0_287
; %bb.285:                              ;   in Loop: Header=BB0_284 Depth=2
	s_and_not1_saveexec_b32 s14, s14
	s_cbranch_execnz .LBB0_290
.LBB0_286:                              ;   in Loop: Header=BB0_284 Depth=2
	s_or_b32 exec_lo, exec_lo, s14
	s_and_saveexec_b32 s14, s13
	s_cbranch_execz .LBB0_283
	s_branch .LBB0_293
.LBB0_287:                              ;   in Loop: Header=BB0_284 Depth=2
	v_lshl_add_u32 v47, v24, 3, v0
	v_add_nc_u32_e32 v24, -1, v24
	s_mov_b32 s15, exec_lo
                                        ; implicit-def: $vgpr46
	ds_store_b64 v47, v[44:45] offset:160
	ds_load_b64 v[21:22], v49
	s_waitcnt lgkmcnt(0)
	ds_store_b64 v47, v[21:22]
	ds_load_b64 v[21:22], v49 offset:80
	s_waitcnt lgkmcnt(0)
	ds_store_b64 v47, v[21:22] offset:80
	ds_load_b64 v[44:45], v48 offset:80
                                        ; implicit-def: $vgpr22_vgpr23
                                        ; implicit-def: $vgpr21
	s_waitcnt lgkmcnt(0)
	v_cmpx_lt_f64_e32 v[44:45], v[35:36]
	s_cbranch_execz .LBB0_289
; %bb.288:                              ;   in Loop: Header=BB0_284 Depth=2
	ds_load_b64 v[21:22], v49 offset:160
	v_add_f64 v[50:51], v[35:36], -v[44:45]
	v_add_nc_u32_e32 v23, 0xffffffb0, v48
	ds_store_b64 v47, v[35:36] offset:152
	v_add_nc_u32_e32 v46, 0x50, v49
	v_add_nc_u32_e32 v47, -8, v47
	s_mov_b32 s13, exec_lo
	s_waitcnt lgkmcnt(1)
	v_add_f64 v[21:22], v[21:22], -v[44:45]
	s_delay_alu instid0(VALU_DEP_1) | instskip(SKIP_1) | instid1(VALU_DEP_2)
	v_div_scale_f64 v[44:45], null, v[21:22], v[21:22], v[50:51]
	v_div_scale_f64 v[56:57], vcc_lo, v[50:51], v[21:22], v[50:51]
	v_rcp_f64_e32 v[52:53], v[44:45]
	s_waitcnt_depctr 0xfff
	v_fma_f64 v[54:55], -v[44:45], v[52:53], 1.0
	s_delay_alu instid0(VALU_DEP_1) | instskip(NEXT) | instid1(VALU_DEP_1)
	v_fma_f64 v[52:53], v[52:53], v[54:55], v[52:53]
	v_fma_f64 v[54:55], -v[44:45], v[52:53], 1.0
	s_delay_alu instid0(VALU_DEP_1) | instskip(NEXT) | instid1(VALU_DEP_1)
	v_fma_f64 v[52:53], v[52:53], v[54:55], v[52:53]
	v_mul_f64 v[54:55], v[56:57], v[52:53]
	s_delay_alu instid0(VALU_DEP_1) | instskip(NEXT) | instid1(VALU_DEP_1)
	v_fma_f64 v[44:45], -v[44:45], v[54:55], v[56:57]
	v_div_fmas_f64 v[44:45], v[44:45], v[52:53], v[54:55]
	ds_load_b64 v[52:53], v49
	ds_load_b64 v[54:55], v23
	v_div_fixup_f64 v[22:23], v[44:45], v[21:22], v[50:51]
	v_mov_b32_e32 v21, v19
	s_waitcnt lgkmcnt(0)
	v_add_f64 v[44:45], v[52:53], -v[54:55]
	s_delay_alu instid0(VALU_DEP_1)
	v_fma_f64 v[44:45], v[22:23], v[44:45], v[54:55]
	ds_store_b64 v47, v[44:45]
.LBB0_289:                              ;   in Loop: Header=BB0_284 Depth=2
	s_or_b32 exec_lo, exec_lo, s15
	s_delay_alu instid0(SALU_CYCLE_1)
	s_and_b32 s13, s13, exec_lo
                                        ; implicit-def: $vgpr44_vgpr45
                                        ; implicit-def: $vgpr49
	s_and_not1_saveexec_b32 s14, s14
	s_cbranch_execz .LBB0_286
.LBB0_290:                              ;   in Loop: Header=BB0_284 Depth=2
	ds_load_b64 v[46:47], v48 offset:80
	s_mov_b32 s16, s13
	s_mov_b32 s15, exec_lo
                                        ; implicit-def: $vgpr22_vgpr23
	s_waitcnt lgkmcnt(0)
	v_cmpx_ge_f64_e32 v[46:47], v[35:36]
	s_cbranch_execz .LBB0_292
; %bb.291:                              ;   in Loop: Header=BB0_284 Depth=2
	v_add_f64 v[22:23], v[46:47], -v[44:45]
	v_add_f64 v[44:45], v[35:36], -v[44:45]
	s_or_b32 s16, s13, exec_lo
	s_delay_alu instid0(VALU_DEP_1) | instskip(SKIP_1) | instid1(VALU_DEP_2)
	v_div_scale_f64 v[46:47], null, v[22:23], v[22:23], v[44:45]
	v_div_scale_f64 v[54:55], vcc_lo, v[44:45], v[22:23], v[44:45]
	v_rcp_f64_e32 v[50:51], v[46:47]
	s_waitcnt_depctr 0xfff
	v_fma_f64 v[52:53], -v[46:47], v[50:51], 1.0
	s_delay_alu instid0(VALU_DEP_1) | instskip(NEXT) | instid1(VALU_DEP_1)
	v_fma_f64 v[50:51], v[50:51], v[52:53], v[50:51]
	v_fma_f64 v[52:53], -v[46:47], v[50:51], 1.0
	s_delay_alu instid0(VALU_DEP_1) | instskip(NEXT) | instid1(VALU_DEP_1)
	v_fma_f64 v[50:51], v[50:51], v[52:53], v[50:51]
	v_mul_f64 v[52:53], v[54:55], v[50:51]
	s_delay_alu instid0(VALU_DEP_1) | instskip(NEXT) | instid1(VALU_DEP_1)
	v_fma_f64 v[46:47], -v[46:47], v[52:53], v[54:55]
	v_div_fmas_f64 v[46:47], v[46:47], v[50:51], v[52:53]
	v_lshl_add_u32 v53, v24, 3, v0
	v_add_nc_u32_e32 v51, 0xffffffb0, v48
	ds_store_b64 v53, v[35:36] offset:160
	ds_load_b64 v[49:50], v49
	ds_load_b64 v[51:52], v51
	v_div_fixup_f64 v[22:23], v[46:47], v[22:23], v[44:45]
	s_waitcnt lgkmcnt(0)
	v_add_f64 v[44:45], v[51:52], -v[49:50]
	s_delay_alu instid0(VALU_DEP_1)
	v_fma_f64 v[44:45], v[22:23], v[44:45], v[49:50]
	ds_store_b64 v53, v[44:45]
.LBB0_292:                              ;   in Loop: Header=BB0_284 Depth=2
	s_or_b32 exec_lo, exec_lo, s15
	v_mov_b32_e32 v46, v48
	s_and_not1_b32 s13, s13, exec_lo
	s_and_b32 s15, s16, exec_lo
	s_delay_alu instid0(SALU_CYCLE_1)
	s_or_b32 s13, s13, s15
	s_or_b32 exec_lo, exec_lo, s14
	s_and_saveexec_b32 s14, s13
	s_cbranch_execz .LBB0_283
.LBB0_293:                              ;   in Loop: Header=BB0_284 Depth=2
	v_lshl_add_u32 v21, v21, 3, v66
	ds_load_b64 v[44:45], v21
	ds_load_b64 v[46:47], v46
	s_waitcnt lgkmcnt(0)
	v_add_f64 v[46:47], v[46:47], -v[44:45]
	s_delay_alu instid0(VALU_DEP_1)
	v_fma_f64 v[21:22], v[22:23], v[46:47], v[44:45]
	v_lshl_add_u32 v23, v24, 3, v66
	v_add_nc_u32_e32 v24, -1, v24
	ds_store_b64 v23, v[21:22]
	s_branch .LBB0_283
.LBB0_294:                              ;   in Loop: Header=BB0_178 Depth=1
	s_or_b32 exec_lo, exec_lo, s12
.LBB0_295:                              ;   in Loop: Header=BB0_178 Depth=1
	s_delay_alu instid0(SALU_CYCLE_1) | instskip(NEXT) | instid1(SALU_CYCLE_1)
	s_or_b32 exec_lo, exec_lo, s11
	s_mov_b32 s11, exec_lo
	v_cmpx_gt_i32_e32 7, v24
	s_cbranch_execz .LBB0_303
; %bb.296:                              ;   in Loop: Header=BB0_178 Depth=1
	v_sub_nc_u32_e32 v54, 9, v24
	v_dual_mov_b32 v55, v43 :: v_dual_lshlrev_b32 v78, 3, v24
	s_mov_b32 s12, 0
	s_delay_alu instid0(VALU_DEP_2) | instskip(NEXT) | instid1(VALU_DEP_2)
	v_mov_b32_e32 v17, v54
	v_dual_mov_b32 v18, v55 :: v_dual_add_nc_u32 v19, v69, v78
.LBB0_297:                              ;   Parent Loop BB0_178 Depth=1
                                        ; =>  This Inner Loop Header: Depth=2
	s_delay_alu instid0(VALU_DEP_2) | instskip(NEXT) | instid1(VALU_DEP_2)
	v_add_co_u32 v17, vcc_lo, v17, -1
	v_add_co_ci_u32_e32 v18, vcc_lo, -1, v18, vcc_lo
	ds_store_b64 v19, v[35:36]
	v_add_nc_u32_e32 v19, 8, v19
	v_cmp_eq_u64_e32 vcc_lo, 0, v[17:18]
	s_or_b32 s12, vcc_lo, s12
	s_delay_alu instid0(SALU_CYCLE_1)
	s_and_not1_b32 exec_lo, exec_lo, s12
	s_cbranch_execnz .LBB0_297
; %bb.298:                              ;   in Loop: Header=BB0_178 Depth=1
	s_or_b32 exec_lo, exec_lo, s12
	v_mov_b32_e32 v46, 0
	v_mov_b32_e32 v47, 0
	s_delay_alu instid0(VALU_DEP_2) | instskip(SKIP_1) | instid1(VALU_DEP_2)
	v_mov_b32_e32 v44, v46
	s_mov_b32 s12, exec_lo
	v_mov_b32_e32 v45, v47
	v_dual_mov_b32 v49, v47 :: v_dual_mov_b32 v48, v46
	v_dual_mov_b32 v51, v47 :: v_dual_mov_b32 v50, v46
	v_cmpx_lt_u32_e32 2, v54
	s_cbranch_execz .LBB0_302
; %bb.299:                              ;   in Loop: Header=BB0_178 Depth=1
	v_lshl_add_u32 v21, v24, 3, v66
	v_add_co_u32 v54, s13, v54, -2
	s_delay_alu instid0(VALU_DEP_1) | instskip(NEXT) | instid1(VALU_DEP_3)
	v_add_co_ci_u32_e64 v55, null, 0, -1, s13
	v_add_nc_u32_e32 v44, 0xffffffb8, v21
	v_subrev_nc_u32_e32 v45, 64, v21
	s_mov_b32 s13, 0
	ds_load_2addr_b64 v[17:20], v21 offset0:1 offset1:2
	ds_load_2addr_b64 v[21:24], v21 offset0:11 offset1:12
	ds_load_b64 v[52:53], v44
	ds_load_b64 v[56:57], v45
	v_mov_b32_e32 v44, 0
	v_dual_mov_b32 v45, 0 :: v_dual_add_nc_u32 v78, v75, v78
	s_delay_alu instid0(VALU_DEP_1)
	v_dual_mov_b32 v51, v45 :: v_dual_mov_b32 v50, v44
	v_dual_mov_b32 v49, v45 :: v_dual_mov_b32 v48, v44
	;; [unrolled: 1-line block ×3, first 2 shown]
.LBB0_300:                              ;   Parent Loop BB0_178 Depth=1
                                        ; =>  This Inner Loop Header: Depth=2
	ds_load_2addr_b64 v[79:82], v78 offset1:10
	s_waitcnt lgkmcnt(3)
	v_add_f64 v[83:84], v[21:22], v[23:24]
	ds_load_b64 v[89:90], v78 offset:160
	s_waitcnt lgkmcnt(2)
	v_add_f64 v[91:92], v[52:53], v[56:57]
	v_add_f64 v[93:94], v[52:53], -v[56:57]
	v_add_co_u32 v54, vcc_lo, v54, -1
	v_add_co_ci_u32_e32 v55, vcc_lo, -1, v55, vcc_lo
	v_add_nc_u32_e32 v78, 8, v78
	s_delay_alu instid0(VALU_DEP_2)
	v_cmp_eq_u64_e32 vcc_lo, 0, v[54:55]
	s_or_b32 s13, vcc_lo, s13
	s_waitcnt lgkmcnt(1)
	v_add_f64 v[85:86], v[19:20], v[81:82]
	v_add_f64 v[87:88], v[56:57], -v[79:80]
	v_add_f64 v[19:20], v[17:18], v[19:20]
	s_waitcnt lgkmcnt(0)
	v_add_f64 v[23:24], v[23:24], v[89:90]
	v_add_f64 v[56:57], v[56:57], v[79:80]
	;; [unrolled: 1-line block ×4, first 2 shown]
	v_add_f64 v[101:102], v[79:80], -v[52:53]
	v_mul_f64 v[95:96], v[83:84], 0.5
	v_fma_f64 v[83:84], v[83:84], 0.5, 0
	v_fma_f64 v[91:92], v[37:38], v[91:92], v[1:2]
	v_mul_f64 v[87:88], v[87:88], v[85:86]
	v_fma_f64 v[103:104], v[39:40], v[19:20], v[5:6]
	v_mul_f64 v[105:106], v[23:24], 0.5
	v_fma_f64 v[56:57], v[37:38], v[56:57], v[1:2]
	v_fma_f64 v[85:86], v[39:40], v[85:86], v[5:6]
	v_fma_f64 v[107:108], v[95:96], 0.5, v[7:8]
	v_fma_f64 v[23:24], v[23:24], 0.5, v[83:84]
	v_fma_f64 v[91:92], v[91:92], v[95:96], 0
	v_fma_f64 v[19:20], v[93:94], v[19:20], v[87:88]
	v_add_f64 v[87:88], v[52:53], v[79:80]
	v_mul_f64 v[93:94], v[97:98], 0.5
	v_fma_f64 v[103:104], v[95:96], v[103:104], 0
	v_fma_f64 v[109:110], v[105:106], 0.5, v[7:8]
	v_fma_f64 v[95:96], v[95:96], v[107:108], 0
	v_fma_f64 v[23:24], v[97:98], 0.5, v[23:24]
	v_fma_f64 v[56:57], v[56:57], v[105:106], v[91:92]
	v_fma_f64 v[19:20], v[101:102], v[99:100], v[19:20]
	;; [unrolled: 1-line block ×4, first 2 shown]
	v_fma_f64 v[83:84], v[93:94], 0.5, v[7:8]
	v_fma_f64 v[85:86], v[105:106], v[85:86], v[103:104]
	v_fma_f64 v[91:92], v[105:106], v[109:110], v[95:96]
	v_mul_f64 v[19:20], v[19:20], 0.5
	v_fma_f64 v[56:57], v[87:88], v[93:94], v[56:57]
	s_delay_alu instid0(VALU_DEP_4) | instskip(NEXT) | instid1(VALU_DEP_4)
	v_fma_f64 v[85:86], v[93:94], v[99:100], v[85:86]
	v_fma_f64 v[83:84], v[93:94], v[83:84], v[91:92]
	s_delay_alu instid0(VALU_DEP_4) | instskip(NEXT) | instid1(VALU_DEP_1)
	v_mul_f64 v[19:20], v[19:20], s[6:7]
	v_fma_f64 v[44:45], v[23:24], v[19:20], v[44:45]
	v_fma_f64 v[50:51], v[19:20], v[56:57], v[50:51]
	;; [unrolled: 1-line block ×4, first 2 shown]
	v_dual_mov_b32 v56, v79 :: v_dual_mov_b32 v19, v81
	v_dual_mov_b32 v20, v82 :: v_dual_mov_b32 v23, v89
	;; [unrolled: 1-line block ×3, first 2 shown]
	s_and_not1_b32 exec_lo, exec_lo, s13
	s_cbranch_execnz .LBB0_300
; %bb.301:                              ;   in Loop: Header=BB0_178 Depth=1
	s_or_b32 exec_lo, exec_lo, s13
.LBB0_302:                              ;   in Loop: Header=BB0_178 Depth=1
	s_delay_alu instid0(SALU_CYCLE_1)
	s_or_b32 exec_lo, exec_lo, s12
	v_fma_f64 v[13:14], v[3:4], v[44:45], v[13:14]
	v_fma_f64 v[15:16], v[3:4], v[50:51], v[15:16]
	;; [unrolled: 1-line block ×4, first 2 shown]
.LBB0_303:                              ;   in Loop: Header=BB0_178 Depth=1
	s_or_b32 exec_lo, exec_lo, s11
	s_and_saveexec_b32 s11, s2
	s_cbranch_execz .LBB0_306
; %bb.304:                              ;   in Loop: Header=BB0_178 Depth=1
	v_mov_b32_e32 v17, v25
	v_dual_mov_b32 v19, v0 :: v_dual_mov_b32 v18, v26
	s_mov_b32 s2, 0
	s_mov_b32 s12, s10
	.p2align	6
.LBB0_305:                              ;   Parent Loop BB0_178 Depth=1
                                        ; =>  This Inner Loop Header: Depth=2
	s_delay_alu instid0(SALU_CYCLE_1)
	s_add_i32 s13, s12, 64
	s_clause 0x2
	scratch_load_b64 v[20:21], off, s12
	scratch_load_b64 v[22:23], off, s12 offset:-64
	scratch_load_b64 v[44:45], off, s13
	v_add_co_u32 v17, vcc_lo, v17, -1
	v_add_co_ci_u32_e32 v18, vcc_lo, -1, v18, vcc_lo
	s_add_i32 s12, s12, 8
	s_waitcnt vmcnt(1)
	ds_store_2addr_b64 v19, v[22:23], v[20:21] offset1:10
	s_waitcnt vmcnt(0)
	ds_store_b64 v19, v[44:45] offset:160
	v_cmp_eq_u64_e32 vcc_lo, 0, v[17:18]
	v_add_nc_u32_e32 v19, 8, v19
	s_or_b32 s2, vcc_lo, s2
	s_delay_alu instid0(SALU_CYCLE_1)
	s_and_not1_b32 exec_lo, exec_lo, s2
	s_cbranch_execnz .LBB0_305
.LBB0_306:                              ;   in Loop: Header=BB0_178 Depth=1
	s_or_b32 exec_lo, exec_lo, s11
	v_mov_b32_e32 v18, 0
	s_and_saveexec_b32 s2, s3
	s_cbranch_execz .LBB0_320
; %bb.307:                              ;   in Loop: Header=BB0_178 Depth=1
	v_add_co_u32 v17, vcc_lo, v27, 1
	v_lshl_add_u32 v26, v25, 3, v73
	v_add_co_ci_u32_e32 v18, vcc_lo, 0, v28, vcc_lo
	v_dual_mov_b32 v19, 0 :: v_dual_mov_b32 v44, 9
	s_mov_b32 s3, 0
	v_mov_b32_e32 v20, 0
	s_branch .LBB0_309
.LBB0_308:                              ;   in Loop: Header=BB0_309 Depth=2
	s_or_b32 exec_lo, exec_lo, s12
	v_add_co_u32 v17, vcc_lo, v17, -1
	v_add_co_ci_u32_e32 v18, vcc_lo, -1, v18, vcc_lo
	v_add_co_u32 v21, vcc_lo, v27, -1
	v_add_co_ci_u32_e32 v22, vcc_lo, -1, v28, vcc_lo
	s_delay_alu instid0(VALU_DEP_3) | instskip(SKIP_2) | instid1(VALU_DEP_4)
	v_cmp_eq_u64_e32 vcc_lo, 0, v[17:18]
	v_dual_mov_b32 v19, v27 :: v_dual_add_nc_u32 v26, -8, v26
	v_mov_b32_e32 v20, v28
	v_dual_mov_b32 v28, v22 :: v_dual_mov_b32 v27, v21
	v_mov_b32_e32 v44, v24
	s_or_b32 s3, vcc_lo, s3
	s_delay_alu instid0(SALU_CYCLE_1)
	s_and_not1_b32 exec_lo, exec_lo, s3
	s_cbranch_execz .LBB0_319
.LBB0_309:                              ;   Parent Loop BB0_178 Depth=1
                                        ; =>  This Inner Loop Header: Depth=2
	s_delay_alu instid0(VALU_DEP_2)
	v_lshl_add_u32 v46, v19, 3, v0
	s_mov_b32 s11, 0
	s_mov_b32 s12, exec_lo
                                        ; implicit-def: $sgpr13
                                        ; implicit-def: $vgpr24
                                        ; implicit-def: $vgpr20_vgpr21
                                        ; implicit-def: $vgpr45
	ds_load_b64 v[22:23], v46 offset:160
	s_waitcnt lgkmcnt(0)
	v_cmpx_nlt_f64_e32 v[22:23], v[35:36]
	s_xor_b32 s12, exec_lo, s12
	s_cbranch_execnz .LBB0_312
; %bb.310:                              ;   in Loop: Header=BB0_309 Depth=2
	s_or_saveexec_b32 s12, s12
	v_mov_b32_e32 v25, s13
	s_xor_b32 exec_lo, exec_lo, s12
	s_cbranch_execnz .LBB0_315
.LBB0_311:                              ;   in Loop: Header=BB0_309 Depth=2
	s_or_b32 exec_lo, exec_lo, s12
	s_and_saveexec_b32 s12, s11
	s_cbranch_execz .LBB0_308
	s_branch .LBB0_318
.LBB0_312:                              ;   in Loop: Header=BB0_309 Depth=2
	ds_load_b64 v[24:25], v26 offset:160
	s_mov_b32 s14, exec_lo
                                        ; implicit-def: $sgpr13
                                        ; implicit-def: $vgpr20_vgpr21
                                        ; implicit-def: $vgpr45
	s_waitcnt lgkmcnt(0)
	v_cmpx_lt_f64_e32 v[24:25], v[35:36]
	s_xor_b32 s14, exec_lo, s14
	s_cbranch_execz .LBB0_314
; %bb.313:                              ;   in Loop: Header=BB0_309 Depth=2
	v_add_f64 v[20:21], v[22:23], -v[24:25]
	v_add_f64 v[22:23], v[35:36], -v[24:25]
	s_mov_b32 s11, exec_lo
	s_mov_b32 s13, -1
	s_delay_alu instid0(VALU_DEP_1) | instskip(SKIP_1) | instid1(VALU_DEP_2)
	v_div_scale_f64 v[24:25], null, v[20:21], v[20:21], v[22:23]
	v_div_scale_f64 v[51:52], vcc_lo, v[22:23], v[20:21], v[22:23]
	v_rcp_f64_e32 v[47:48], v[24:25]
	s_waitcnt_depctr 0xfff
	v_fma_f64 v[49:50], -v[24:25], v[47:48], 1.0
	s_delay_alu instid0(VALU_DEP_1) | instskip(NEXT) | instid1(VALU_DEP_1)
	v_fma_f64 v[47:48], v[47:48], v[49:50], v[47:48]
	v_fma_f64 v[49:50], -v[24:25], v[47:48], 1.0
	s_delay_alu instid0(VALU_DEP_1) | instskip(NEXT) | instid1(VALU_DEP_1)
	v_fma_f64 v[47:48], v[47:48], v[49:50], v[47:48]
	v_mul_f64 v[49:50], v[51:52], v[47:48]
	s_delay_alu instid0(VALU_DEP_1) | instskip(NEXT) | instid1(VALU_DEP_1)
	v_fma_f64 v[24:25], -v[24:25], v[49:50], v[51:52]
	v_div_fmas_f64 v[24:25], v[24:25], v[47:48], v[49:50]
	v_lshl_add_u32 v49, v44, 3, v0
	ds_store_b64 v49, v[35:36] offset:160
	ds_load_b64 v[47:48], v26
	ds_load_b64 v[45:46], v46
	v_div_fixup_f64 v[20:21], v[24:25], v[20:21], v[22:23]
	s_waitcnt lgkmcnt(0)
	v_add_f64 v[22:23], v[45:46], -v[47:48]
	v_add_nc_u32_e32 v45, 0x50, v26
	s_delay_alu instid0(VALU_DEP_2)
	v_fma_f64 v[22:23], v[20:21], v[22:23], v[47:48]
	ds_store_b64 v49, v[22:23]
.LBB0_314:                              ;   in Loop: Header=BB0_309 Depth=2
	s_or_b32 exec_lo, exec_lo, s14
	v_mov_b32_e32 v24, v44
	s_and_b32 s11, s11, exec_lo
                                        ; implicit-def: $vgpr22_vgpr23
                                        ; implicit-def: $vgpr46
	s_or_saveexec_b32 s12, s12
	v_mov_b32_e32 v25, s13
	s_xor_b32 exec_lo, exec_lo, s12
	s_cbranch_execz .LBB0_311
.LBB0_315:                              ;   in Loop: Header=BB0_309 Depth=2
	v_lshl_add_u32 v25, v44, 3, v0
	v_add_nc_u32_e32 v24, -1, v44
	s_mov_b32 s14, s11
	s_mov_b32 s13, exec_lo
                                        ; implicit-def: $sgpr15
                                        ; implicit-def: $vgpr45
	ds_store_b64 v25, v[22:23] offset:160
	ds_load_b64 v[19:20], v46
	s_waitcnt lgkmcnt(0)
	ds_store_b64 v25, v[19:20]
	ds_load_b64 v[19:20], v46 offset:80
	s_waitcnt lgkmcnt(0)
	ds_store_b64 v25, v[19:20] offset:80
	ds_load_b64 v[22:23], v26 offset:160
                                        ; implicit-def: $vgpr20_vgpr21
                                        ; implicit-def: $vgpr19
	s_waitcnt lgkmcnt(0)
	v_cmpx_ge_f64_e32 v[22:23], v[35:36]
	s_cbranch_execz .LBB0_317
; %bb.316:                              ;   in Loop: Header=BB0_309 Depth=2
	ds_load_b64 v[19:20], v46 offset:160
	ds_store_b64 v25, v[35:36] offset:152
	v_add_nc_u32_e32 v45, 0x50, v46
	v_add_nc_u32_e32 v25, -8, v25
	s_mov_b32 s15, -2
	s_or_b32 s14, s11, exec_lo
	s_waitcnt lgkmcnt(1)
	v_add_f64 v[21:22], v[22:23], -v[19:20]
	v_add_f64 v[19:20], v[35:36], -v[19:20]
	s_delay_alu instid0(VALU_DEP_1) | instskip(SKIP_1) | instid1(VALU_DEP_2)
	v_div_scale_f64 v[47:48], null, v[21:22], v[21:22], v[19:20]
	v_div_scale_f64 v[53:54], vcc_lo, v[19:20], v[21:22], v[19:20]
	v_rcp_f64_e32 v[49:50], v[47:48]
	s_waitcnt_depctr 0xfff
	v_fma_f64 v[51:52], -v[47:48], v[49:50], 1.0
	s_delay_alu instid0(VALU_DEP_1) | instskip(NEXT) | instid1(VALU_DEP_1)
	v_fma_f64 v[49:50], v[49:50], v[51:52], v[49:50]
	v_fma_f64 v[51:52], -v[47:48], v[49:50], 1.0
	s_delay_alu instid0(VALU_DEP_1) | instskip(NEXT) | instid1(VALU_DEP_1)
	v_fma_f64 v[49:50], v[49:50], v[51:52], v[49:50]
	v_mul_f64 v[51:52], v[53:54], v[49:50]
	s_delay_alu instid0(VALU_DEP_1) | instskip(NEXT) | instid1(VALU_DEP_1)
	v_fma_f64 v[47:48], -v[47:48], v[51:52], v[53:54]
	v_div_fmas_f64 v[47:48], v[47:48], v[49:50], v[51:52]
	ds_load_b64 v[49:50], v46
	ds_load_b64 v[51:52], v26
	v_div_fixup_f64 v[20:21], v[47:48], v[21:22], v[19:20]
	s_waitcnt lgkmcnt(0)
	v_add_f64 v[22:23], v[51:52], -v[49:50]
	v_mov_b32_e32 v19, v27
	s_delay_alu instid0(VALU_DEP_2)
	v_fma_f64 v[22:23], v[20:21], v[22:23], v[49:50]
	ds_store_b64 v25, v[22:23]
.LBB0_317:                              ;   in Loop: Header=BB0_309 Depth=2
	s_or_b32 exec_lo, exec_lo, s13
	v_mov_b32_e32 v25, s15
	s_and_not1_b32 s11, s11, exec_lo
	s_and_b32 s13, s14, exec_lo
	s_delay_alu instid0(SALU_CYCLE_1)
	s_or_b32 s11, s11, s13
	s_or_b32 exec_lo, exec_lo, s12
	s_and_saveexec_b32 s12, s11
	s_cbranch_execz .LBB0_308
.LBB0_318:                              ;   in Loop: Header=BB0_309 Depth=2
	v_lshl_add_u32 v19, v19, 3, v66
	ds_load_b64 v[22:23], v45
	ds_load_b64 v[45:46], v19
	s_waitcnt lgkmcnt(0)
	v_add_f64 v[45:46], v[45:46], -v[22:23]
	s_delay_alu instid0(VALU_DEP_1)
	v_fma_f64 v[19:20], v[20:21], v[45:46], v[22:23]
	v_lshl_add_u32 v21, v24, 3, v66
	v_add_nc_u32_e32 v24, v25, v44
	ds_store_b64 v21, v[19:20]
	s_branch .LBB0_308
.LBB0_319:                              ;   in Loop: Header=BB0_178 Depth=1
	s_or_b32 exec_lo, exec_lo, s3
	v_add_nc_u32_e32 v18, -9, v24
.LBB0_320:                              ;   in Loop: Header=BB0_178 Depth=1
	s_or_b32 exec_lo, exec_lo, s2
	v_mov_b32_e32 v46, 0
	s_mov_b32 s3, 0
	s_mov_b32 s2, exec_lo
	v_cmpx_ne_u32_e32 0, v18
	s_cbranch_execz .LBB0_334
; %bb.321:                              ;   in Loop: Header=BB0_178 Depth=1
	v_add_nc_u32_e32 v17, 10, v18
	v_dual_mov_b32 v21, 9 :: v_dual_mov_b32 v46, 0
	v_lshl_add_u32 v28, v18, 3, v66
	v_mov_b32_e32 v22, 0
	s_delay_alu instid0(VALU_DEP_4) | instskip(SKIP_1) | instid1(VALU_DEP_2)
	v_ashrrev_i32_e32 v18, 31, v17
	v_add_co_u32 v19, vcc_lo, v17, -10
	v_add_co_ci_u32_e32 v20, vcc_lo, -1, v18, vcc_lo
	s_branch .LBB0_323
.LBB0_322:                              ;   in Loop: Header=BB0_323 Depth=2
	s_or_b32 exec_lo, exec_lo, s12
	v_add_co_u32 v19, vcc_lo, v19, 1
	v_add_co_ci_u32_e32 v20, vcc_lo, 0, v20, vcc_lo
	v_add_co_u32 v23, vcc_lo, v17, 1
	v_add_co_ci_u32_e32 v24, vcc_lo, 0, v18, vcc_lo
	s_delay_alu instid0(VALU_DEP_3) | instskip(SKIP_2) | instid1(VALU_DEP_4)
	v_cmp_eq_u64_e32 vcc_lo, 0, v[19:20]
	v_mov_b32_e32 v22, v18
	v_dual_mov_b32 v21, v17 :: v_dual_add_nc_u32 v28, 8, v28
	v_dual_mov_b32 v17, v23 :: v_dual_mov_b32 v18, v24
	s_or_b32 s3, vcc_lo, s3
	s_delay_alu instid0(SALU_CYCLE_1)
	s_and_not1_b32 exec_lo, exec_lo, s3
	s_cbranch_execz .LBB0_333
.LBB0_323:                              ;   Parent Loop BB0_178 Depth=1
                                        ; =>  This Inner Loop Header: Depth=2
	v_lshl_add_u32 v45, v21, 3, v0
	s_mov_b32 s11, 0
	s_mov_b32 s12, exec_lo
                                        ; implicit-def: $vgpr26
                                        ; implicit-def: $vgpr22_vgpr23
                                        ; implicit-def: $vgpr44
	ds_load_b64 v[24:25], v45 offset:160
	s_waitcnt lgkmcnt(0)
	v_cmpx_le_f64_e32 0, v[24:25]
	s_xor_b32 s12, exec_lo, s12
	s_cbranch_execnz .LBB0_326
; %bb.324:                              ;   in Loop: Header=BB0_323 Depth=2
	s_and_not1_saveexec_b32 s12, s12
	s_cbranch_execnz .LBB0_329
.LBB0_325:                              ;   in Loop: Header=BB0_323 Depth=2
	s_or_b32 exec_lo, exec_lo, s12
	s_and_saveexec_b32 s12, s11
	s_cbranch_execz .LBB0_322
	s_branch .LBB0_332
.LBB0_326:                              ;   in Loop: Header=BB0_323 Depth=2
	v_lshl_add_u32 v27, v46, 3, v0
	v_add_nc_u32_e32 v26, 1, v46
	s_mov_b32 s13, exec_lo
                                        ; implicit-def: $vgpr44
	ds_store_b64 v27, v[24:25] offset:160
	ds_load_b64 v[21:22], v45
	s_waitcnt lgkmcnt(0)
	ds_store_b64 v27, v[21:22]
	ds_load_b64 v[21:22], v45 offset:80
	s_waitcnt lgkmcnt(0)
	ds_store_b64 v27, v[21:22] offset:80
	ds_load_b64 v[24:25], v28 offset:160
                                        ; implicit-def: $vgpr22_vgpr23
                                        ; implicit-def: $vgpr21
	s_waitcnt lgkmcnt(0)
	v_cmpx_gt_f64_e32 0, v[24:25]
	s_cbranch_execz .LBB0_328
; %bb.327:                              ;   in Loop: Header=BB0_323 Depth=2
	ds_load_b64 v[21:22], v45 offset:160
	v_add_f64 v[47:48], -v[24:25], 0
	v_mov_b32_e32 v44, v43
	s_mov_b32 s11, exec_lo
	s_waitcnt lgkmcnt(0)
	v_add_f64 v[21:22], v[21:22], -v[24:25]
	v_lshl_add_u32 v25, v46, 3, v69
	s_delay_alu instid0(VALU_DEP_2) | instskip(SKIP_1) | instid1(VALU_DEP_2)
	v_div_scale_f64 v[23:24], null, v[21:22], v[21:22], v[47:48]
	v_div_scale_f64 v[53:54], vcc_lo, v[47:48], v[21:22], v[47:48]
	v_rcp_f64_e32 v[49:50], v[23:24]
	s_waitcnt_depctr 0xfff
	v_fma_f64 v[51:52], -v[23:24], v[49:50], 1.0
	s_delay_alu instid0(VALU_DEP_1) | instskip(NEXT) | instid1(VALU_DEP_1)
	v_fma_f64 v[49:50], v[49:50], v[51:52], v[49:50]
	v_fma_f64 v[51:52], -v[23:24], v[49:50], 1.0
	s_delay_alu instid0(VALU_DEP_1) | instskip(NEXT) | instid1(VALU_DEP_1)
	v_fma_f64 v[49:50], v[49:50], v[51:52], v[49:50]
	v_mul_f64 v[51:52], v[53:54], v[49:50]
	s_delay_alu instid0(VALU_DEP_1) | instskip(NEXT) | instid1(VALU_DEP_1)
	v_fma_f64 v[23:24], -v[23:24], v[51:52], v[53:54]
	v_div_fmas_f64 v[23:24], v[23:24], v[49:50], v[51:52]
	s_delay_alu instid0(VALU_DEP_1)
	v_div_fixup_f64 v[22:23], v[23:24], v[21:22], v[47:48]
	v_mov_b32_e32 v21, v17
	ds_store_b64 v25, v[43:44]
	ds_load_b64 v[49:50], v28
	ds_load_b64 v[51:52], v45
	v_add_nc_u32_e32 v44, 0x50, v45
	s_waitcnt lgkmcnt(0)
	v_add_f64 v[24:25], v[51:52], -v[49:50]
	s_delay_alu instid0(VALU_DEP_1)
	v_fma_f64 v[24:25], v[22:23], v[24:25], v[49:50]
	ds_store_b64 v27, v[24:25] offset:8
.LBB0_328:                              ;   in Loop: Header=BB0_323 Depth=2
	s_or_b32 exec_lo, exec_lo, s13
	v_mov_b32_e32 v46, v26
	s_and_b32 s11, s11, exec_lo
                                        ; implicit-def: $vgpr24_vgpr25
                                        ; implicit-def: $vgpr45
	s_and_not1_saveexec_b32 s12, s12
	s_cbranch_execz .LBB0_325
.LBB0_329:                              ;   in Loop: Header=BB0_323 Depth=2
	ds_load_b64 v[26:27], v28 offset:160
	s_mov_b32 s14, s11
	s_mov_b32 s13, exec_lo
                                        ; implicit-def: $vgpr22_vgpr23
                                        ; implicit-def: $vgpr44
	s_waitcnt lgkmcnt(0)
	v_cmpx_le_f64_e32 0, v[26:27]
	s_cbranch_execz .LBB0_331
; %bb.330:                              ;   in Loop: Header=BB0_323 Depth=2
	v_add_f64 v[22:23], v[26:27], -v[24:25]
	v_add_f64 v[24:25], -v[24:25], 0
	v_mov_b32_e32 v44, v43
	s_or_b32 s14, s11, exec_lo
	s_delay_alu instid0(VALU_DEP_2) | instskip(SKIP_1) | instid1(VALU_DEP_2)
	v_div_scale_f64 v[26:27], null, v[22:23], v[22:23], v[24:25]
	v_div_scale_f64 v[51:52], vcc_lo, v[24:25], v[22:23], v[24:25]
	v_rcp_f64_e32 v[47:48], v[26:27]
	s_waitcnt_depctr 0xfff
	v_fma_f64 v[49:50], -v[26:27], v[47:48], 1.0
	s_delay_alu instid0(VALU_DEP_1) | instskip(NEXT) | instid1(VALU_DEP_1)
	v_fma_f64 v[47:48], v[47:48], v[49:50], v[47:48]
	v_fma_f64 v[49:50], -v[26:27], v[47:48], 1.0
	s_delay_alu instid0(VALU_DEP_1) | instskip(NEXT) | instid1(VALU_DEP_1)
	v_fma_f64 v[47:48], v[47:48], v[49:50], v[47:48]
	v_mul_f64 v[49:50], v[51:52], v[47:48]
	s_delay_alu instid0(VALU_DEP_1) | instskip(NEXT) | instid1(VALU_DEP_1)
	v_fma_f64 v[26:27], -v[26:27], v[49:50], v[51:52]
	v_div_fmas_f64 v[26:27], v[26:27], v[47:48], v[49:50]
	v_lshl_add_u32 v49, v46, 3, v0
	ds_store_b64 v49, v[43:44] offset:160
	ds_load_b64 v[44:45], v45
	ds_load_b64 v[47:48], v28
	v_div_fixup_f64 v[22:23], v[26:27], v[22:23], v[24:25]
	s_waitcnt lgkmcnt(0)
	v_add_f64 v[24:25], v[47:48], -v[44:45]
	s_delay_alu instid0(VALU_DEP_1)
	v_fma_f64 v[24:25], v[22:23], v[24:25], v[44:45]
	v_add_nc_u32_e32 v44, 0x50, v28
	ds_store_b64 v49, v[24:25]
.LBB0_331:                              ;   in Loop: Header=BB0_323 Depth=2
	s_or_b32 exec_lo, exec_lo, s13
	v_mov_b32_e32 v26, v46
	s_and_not1_b32 s11, s11, exec_lo
	s_and_b32 s13, s14, exec_lo
	s_delay_alu instid0(SALU_CYCLE_1)
	s_or_b32 s11, s11, s13
	s_or_b32 exec_lo, exec_lo, s12
	s_and_saveexec_b32 s12, s11
	s_cbranch_execz .LBB0_322
.LBB0_332:                              ;   in Loop: Header=BB0_323 Depth=2
	v_lshl_add_u32 v21, v21, 3, v66
	v_add_nc_u32_e32 v46, 1, v26
	ds_load_b64 v[24:25], v21
	ds_load_b64 v[44:45], v44
	s_waitcnt lgkmcnt(0)
	v_add_f64 v[44:45], v[44:45], -v[24:25]
	s_delay_alu instid0(VALU_DEP_1)
	v_fma_f64 v[21:22], v[22:23], v[44:45], v[24:25]
	v_lshl_add_u32 v23, v26, 3, v66
	ds_store_b64 v23, v[21:22]
	s_branch .LBB0_322
.LBB0_333:                              ;   in Loop: Header=BB0_178 Depth=1
	s_or_b32 exec_lo, exec_lo, s3
.LBB0_334:                              ;   in Loop: Header=BB0_178 Depth=1
	s_delay_alu instid0(SALU_CYCLE_1) | instskip(NEXT) | instid1(SALU_CYCLE_1)
	s_or_b32 exec_lo, exec_lo, s2
	s_mov_b32 s2, exec_lo
	v_cmpx_lt_i32_e32 2, v46
	s_cbranch_execz .LBB0_177
; %bb.335:                              ;   in Loop: Header=BB0_178 Depth=1
	ds_load_2addr_b64 v[17:20], v0 offset1:1
	ds_load_2addr_b64 v[21:24], v0 offset0:10 offset1:11
	ds_load_2addr_b64 v[25:28], v0 offset0:20 offset1:21
	v_mov_b32_e32 v44, 0
	v_dual_mov_b32 v45, 0 :: v_dual_mov_b32 v54, v76
	v_add_co_u32 v46, s3, v46, -2
	s_delay_alu instid0(VALU_DEP_1) | instskip(NEXT) | instid1(VALU_DEP_3)
	v_add_co_ci_u32_e64 v47, null, 0, -1, s3
	v_dual_mov_b32 v49, v45 :: v_dual_mov_b32 v48, v44
	v_dual_mov_b32 v51, v45 :: v_dual_mov_b32 v50, v44
	v_dual_mov_b32 v53, v45 :: v_dual_mov_b32 v52, v44
	s_mov_b32 s3, 0
.LBB0_336:                              ;   Parent Loop BB0_178 Depth=1
                                        ; =>  This Inner Loop Header: Depth=2
	ds_load_2addr_b64 v[78:81], v54 offset1:10
	s_waitcnt lgkmcnt(1)
	v_add_f64 v[55:56], v[25:26], v[27:28]
	ds_load_b64 v[86:87], v54 offset:160
	v_add_f64 v[88:89], v[17:18], v[19:20]
	v_add_f64 v[90:91], v[17:18], -v[19:20]
	v_add_co_u32 v46, vcc_lo, v46, -1
	v_add_co_ci_u32_e32 v47, vcc_lo, -1, v47, vcc_lo
	v_add_nc_u32_e32 v54, 8, v54
	s_delay_alu instid0(VALU_DEP_2)
	v_cmp_eq_u64_e32 vcc_lo, 0, v[46:47]
	s_or_b32 s3, vcc_lo, s3
	s_waitcnt lgkmcnt(1)
	v_add_f64 v[82:83], v[23:24], v[80:81]
	v_add_f64 v[84:85], v[19:20], -v[78:79]
	v_add_f64 v[23:24], v[21:22], v[23:24]
	s_waitcnt lgkmcnt(0)
	v_add_f64 v[27:28], v[27:28], v[86:87]
	v_add_f64 v[19:20], v[19:20], v[78:79]
	;; [unrolled: 1-line block ×4, first 2 shown]
	v_add_f64 v[98:99], v[78:79], -v[17:18]
	v_mul_f64 v[92:93], v[55:56], 0.5
	v_fma_f64 v[55:56], v[55:56], 0.5, 0
	v_fma_f64 v[88:89], v[37:38], v[88:89], v[1:2]
	v_mul_f64 v[84:85], v[84:85], v[82:83]
	v_fma_f64 v[100:101], v[39:40], v[23:24], v[5:6]
	v_mul_f64 v[102:103], v[27:28], 0.5
	v_fma_f64 v[19:20], v[37:38], v[19:20], v[1:2]
	v_fma_f64 v[82:83], v[39:40], v[82:83], v[5:6]
	v_fma_f64 v[104:105], v[92:93], 0.5, v[7:8]
	v_fma_f64 v[27:28], v[27:28], 0.5, v[55:56]
	v_fma_f64 v[88:89], v[88:89], v[92:93], 0
	v_fma_f64 v[23:24], v[90:91], v[23:24], v[84:85]
	v_add_f64 v[84:85], v[17:18], v[78:79]
	v_mul_f64 v[90:91], v[94:95], 0.5
	v_fma_f64 v[100:101], v[92:93], v[100:101], 0
	v_fma_f64 v[106:107], v[102:103], 0.5, v[7:8]
	v_fma_f64 v[92:93], v[92:93], v[104:105], 0
	v_fma_f64 v[27:28], v[94:95], 0.5, v[27:28]
	v_fma_f64 v[19:20], v[19:20], v[102:103], v[88:89]
	v_fma_f64 v[23:24], v[98:99], v[96:97], v[23:24]
	;; [unrolled: 1-line block ×4, first 2 shown]
	v_fma_f64 v[55:56], v[90:91], 0.5, v[7:8]
	v_fma_f64 v[82:83], v[102:103], v[82:83], v[100:101]
	v_fma_f64 v[88:89], v[102:103], v[106:107], v[92:93]
	v_mul_f64 v[23:24], v[23:24], 0.5
	v_fma_f64 v[19:20], v[84:85], v[90:91], v[19:20]
	s_delay_alu instid0(VALU_DEP_4) | instskip(NEXT) | instid1(VALU_DEP_4)
	v_fma_f64 v[82:83], v[90:91], v[96:97], v[82:83]
	v_fma_f64 v[55:56], v[90:91], v[55:56], v[88:89]
	s_delay_alu instid0(VALU_DEP_4) | instskip(NEXT) | instid1(VALU_DEP_1)
	v_mul_f64 v[23:24], v[23:24], s[6:7]
	v_fma_f64 v[44:45], v[27:28], v[23:24], v[44:45]
	v_fma_f64 v[48:49], v[23:24], v[19:20], v[48:49]
	v_mov_b32_e32 v19, v78
	v_fma_f64 v[50:51], v[23:24], v[82:83], v[50:51]
	v_fma_f64 v[52:53], v[23:24], v[55:56], v[52:53]
	v_dual_mov_b32 v20, v79 :: v_dual_mov_b32 v23, v80
	v_dual_mov_b32 v24, v81 :: v_dual_mov_b32 v27, v86
	v_mov_b32_e32 v28, v87
	s_and_not1_b32 exec_lo, exec_lo, s3
	s_cbranch_execnz .LBB0_336
; %bb.337:                              ;   in Loop: Header=BB0_178 Depth=1
	s_or_b32 exec_lo, exec_lo, s3
	v_fma_f64 v[13:14], v[3:4], v[44:45], v[13:14]
	v_fma_f64 v[15:16], v[3:4], v[48:49], v[15:16]
	v_fma_f64 v[9:10], v[3:4], v[50:51], v[9:10]
	v_fma_f64 v[11:12], v[3:4], v[52:53], v[11:12]
	s_branch .LBB0_177
.LBB0_338:
	s_or_b32 exec_lo, exec_lo, s9
.LBB0_339:
	s_delay_alu instid0(SALU_CYCLE_1) | instskip(SKIP_3) | instid1(VALU_DEP_1)
	s_or_b32 exec_lo, exec_lo, s8
	scratch_load_b32 v18, off, off offset:4
	s_waitcnt vmcnt(0)
	v_and_b32_e32 v17, 1, v18
	v_cmp_eq_u32_e32 vcc_lo, 1, v17
	v_mov_b32_e32 v17, 0
	s_and_saveexec_b32 s2, vcc_lo
	s_cbranch_execz .LBB0_341
; %bb.340:
	v_mov_b32_e32 v19, 0
	v_mov_b32_e32 v17, 1
	scratch_store_b8 off, v19, off offset:16
.LBB0_341:
	s_or_b32 exec_lo, exec_lo, s2
	v_and_b32_e32 v19, 2, v18
	s_mov_b32 s2, exec_lo
	s_delay_alu instid0(VALU_DEP_1)
	v_cmpx_ne_u32_e32 0, v19
	s_cbranch_execz .LBB0_343
; %bb.342:
	v_add_nc_u32_e32 v19, 1, v17
	v_or_b32_e32 v20, 16, v17
	v_mov_b32_e32 v21, 1
	s_delay_alu instid0(VALU_DEP_3)
	v_mov_b32_e32 v17, v19
	scratch_store_b8 v20, v21, off
.LBB0_343:
	s_or_b32 exec_lo, exec_lo, s2
	v_and_b32_e32 v19, 4, v18
	s_mov_b32 s2, exec_lo
	s_delay_alu instid0(VALU_DEP_1)
	v_cmpx_ne_u32_e32 0, v19
	s_cbranch_execz .LBB0_345
; %bb.344:
	v_or_b32_e32 v19, 16, v17
	v_dual_mov_b32 v20, 2 :: v_dual_add_nc_u32 v17, 1, v17
	scratch_store_b8 v19, v20, off
.LBB0_345:
	s_or_b32 exec_lo, exec_lo, s2
	v_and_b32_e32 v19, 8, v18
	s_mov_b32 s2, exec_lo
	s_delay_alu instid0(VALU_DEP_1)
	v_cmpx_ne_u32_e32 0, v19
	s_cbranch_execz .LBB0_347
; %bb.346:
	v_or_b32_e32 v19, 16, v17
	v_dual_mov_b32 v20, 3 :: v_dual_add_nc_u32 v17, 1, v17
	scratch_store_b8 v19, v20, off
.LBB0_347:
	;; [unrolled: 11-line block ×3, first 2 shown]
	s_or_b32 exec_lo, exec_lo, s2
	v_and_b32_e32 v19, 32, v18
	s_mov_b32 s2, exec_lo
	s_delay_alu instid0(VALU_DEP_1)
	v_cmpx_ne_u32_e32 0, v19
	s_cbranch_execz .LBB0_351
; %bb.350:
	v_dual_mov_b32 v19, 5 :: v_dual_add_nc_u32 v20, 1, v17
	scratch_store_b8 v17, v19, off offset:16
	v_mov_b32_e32 v17, v20
.LBB0_351:
	s_or_b32 exec_lo, exec_lo, s2
	v_and_b32_e32 v19, 64, v18
	s_mov_b32 s2, exec_lo
	s_delay_alu instid0(VALU_DEP_1)
	v_cmpx_ne_u32_e32 0, v19
	s_cbranch_execz .LBB0_353
; %bb.352:
	v_dual_mov_b32 v19, 6 :: v_dual_add_nc_u32 v20, 1, v17
	scratch_store_b8 v17, v19, off offset:16
	v_mov_b32_e32 v17, v20
.LBB0_353:
	s_or_b32 exec_lo, exec_lo, s2
	v_and_b32_e32 v19, 0x80, v18
	s_mov_b32 s2, exec_lo
	s_delay_alu instid0(VALU_DEP_1)
	v_cmpx_ne_u32_e32 0, v19
	s_cbranch_execz .LBB0_355
; %bb.354:
	v_dual_mov_b32 v19, 7 :: v_dual_add_nc_u32 v20, 1, v17
	scratch_store_b8 v17, v19, off offset:16
	v_mov_b32_e32 v17, v20
.LBB0_355:
	s_or_b32 exec_lo, exec_lo, s2
	v_and_b32_e32 v19, 0x100, v18
	s_mov_b32 s2, exec_lo
	s_delay_alu instid0(VALU_DEP_1)
	v_cmpx_ne_u32_e32 0, v19
	s_cbranch_execz .LBB0_357
; %bb.356:
	v_dual_mov_b32 v19, 8 :: v_dual_add_nc_u32 v20, 1, v17
	scratch_store_b8 v17, v19, off offset:16
	v_mov_b32_e32 v17, v20
.LBB0_357:
	s_or_b32 exec_lo, exec_lo, s2
	v_and_b32_e32 v19, 0x200, v18
	s_mov_b32 s2, exec_lo
	s_delay_alu instid0(VALU_DEP_1)
	v_cmpx_ne_u32_e32 0, v19
	s_cbranch_execz .LBB0_359
; %bb.358:
	v_dual_mov_b32 v19, 9 :: v_dual_add_nc_u32 v20, 1, v17
	scratch_store_b8 v17, v19, off offset:16
	v_mov_b32_e32 v17, v20
.LBB0_359:
	s_or_b32 exec_lo, exec_lo, s2
	v_and_b32_e32 v19, 0x400, v18
	s_mov_b32 s2, exec_lo
	s_delay_alu instid0(VALU_DEP_1)
	v_cmpx_ne_u32_e32 0, v19
	s_cbranch_execz .LBB0_361
; %bb.360:
	v_dual_mov_b32 v19, 10 :: v_dual_add_nc_u32 v20, 1, v17
	scratch_store_b8 v17, v19, off offset:16
	v_mov_b32_e32 v17, v20
.LBB0_361:
	s_or_b32 exec_lo, exec_lo, s2
	v_and_b32_e32 v19, 0x800, v18
	s_mov_b32 s2, exec_lo
	s_delay_alu instid0(VALU_DEP_1)
	v_cmpx_ne_u32_e32 0, v19
	s_cbranch_execz .LBB0_363
; %bb.362:
	v_dual_mov_b32 v19, 11 :: v_dual_add_nc_u32 v20, 1, v17
	scratch_store_b8 v17, v19, off offset:16
	v_mov_b32_e32 v17, v20
.LBB0_363:
	s_or_b32 exec_lo, exec_lo, s2
	v_and_b32_e32 v19, 0x1000, v18
	s_mov_b32 s2, exec_lo
	s_delay_alu instid0(VALU_DEP_1)
	v_cmpx_ne_u32_e32 0, v19
	s_cbranch_execz .LBB0_365
; %bb.364:
	v_dual_mov_b32 v19, 12 :: v_dual_add_nc_u32 v20, 1, v17
	scratch_store_b8 v17, v19, off offset:16
	v_mov_b32_e32 v17, v20
.LBB0_365:
	s_or_b32 exec_lo, exec_lo, s2
	v_and_b32_e32 v19, 0x2000, v18
	s_mov_b32 s2, exec_lo
	s_delay_alu instid0(VALU_DEP_1)
	v_cmpx_ne_u32_e32 0, v19
	s_cbranch_execz .LBB0_367
; %bb.366:
	v_dual_mov_b32 v19, 13 :: v_dual_add_nc_u32 v20, 1, v17
	scratch_store_b8 v17, v19, off offset:16
	v_mov_b32_e32 v17, v20
.LBB0_367:
	s_or_b32 exec_lo, exec_lo, s2
	v_and_b32_e32 v19, 0x4000, v18
	s_mov_b32 s2, exec_lo
	s_delay_alu instid0(VALU_DEP_1)
	v_cmpx_ne_u32_e32 0, v19
	s_cbranch_execz .LBB0_369
; %bb.368:
	v_dual_mov_b32 v19, 14 :: v_dual_add_nc_u32 v20, 1, v17
	scratch_store_b8 v17, v19, off offset:16
	v_mov_b32_e32 v17, v20
.LBB0_369:
	s_or_b32 exec_lo, exec_lo, s2
	v_and_b32_e32 v19, 0x8000, v18
	s_mov_b32 s2, exec_lo
	s_delay_alu instid0(VALU_DEP_1)
	v_cmpx_ne_u32_e32 0, v19
	s_cbranch_execz .LBB0_371
; %bb.370:
	v_dual_mov_b32 v19, 15 :: v_dual_add_nc_u32 v20, 1, v17
	scratch_store_b8 v17, v19, off offset:16
	v_mov_b32_e32 v17, v20
.LBB0_371:
	s_or_b32 exec_lo, exec_lo, s2
	v_and_b32_e32 v19, 0x10000, v18
	s_mov_b32 s2, exec_lo
	s_delay_alu instid0(VALU_DEP_1)
	v_cmpx_ne_u32_e32 0, v19
	s_cbranch_execz .LBB0_373
; %bb.372:
	v_dual_mov_b32 v19, 16 :: v_dual_add_nc_u32 v20, 1, v17
	scratch_store_b8 v17, v19, off offset:16
	v_mov_b32_e32 v17, v20
.LBB0_373:
	s_or_b32 exec_lo, exec_lo, s2
	v_and_b32_e32 v19, 0x20000, v18
	s_mov_b32 s2, exec_lo
	s_delay_alu instid0(VALU_DEP_1)
	v_cmpx_ne_u32_e32 0, v19
	s_cbranch_execz .LBB0_375
; %bb.374:
	v_dual_mov_b32 v19, 17 :: v_dual_add_nc_u32 v20, 1, v17
	scratch_store_b8 v17, v19, off offset:16
	v_mov_b32_e32 v17, v20
.LBB0_375:
	s_or_b32 exec_lo, exec_lo, s2
	v_and_b32_e32 v19, 0x40000, v18
	s_mov_b32 s2, exec_lo
	s_delay_alu instid0(VALU_DEP_1)
	v_cmpx_ne_u32_e32 0, v19
	s_cbranch_execz .LBB0_377
; %bb.376:
	v_dual_mov_b32 v19, 18 :: v_dual_add_nc_u32 v20, 1, v17
	scratch_store_b8 v17, v19, off offset:16
	v_mov_b32_e32 v17, v20
.LBB0_377:
	s_or_b32 exec_lo, exec_lo, s2
	v_and_b32_e32 v19, 0x80000, v18
	s_mov_b32 s2, exec_lo
	s_delay_alu instid0(VALU_DEP_1)
	v_cmpx_ne_u32_e32 0, v19
	s_cbranch_execz .LBB0_379
; %bb.378:
	v_dual_mov_b32 v19, 19 :: v_dual_add_nc_u32 v20, 1, v17
	scratch_store_b8 v17, v19, off offset:16
	v_mov_b32_e32 v17, v20
.LBB0_379:
	s_or_b32 exec_lo, exec_lo, s2
	v_and_b32_e32 v19, 0x100000, v18
	s_mov_b32 s2, exec_lo
	s_delay_alu instid0(VALU_DEP_1)
	v_cmpx_ne_u32_e32 0, v19
	s_cbranch_execz .LBB0_381
; %bb.380:
	v_dual_mov_b32 v19, 20 :: v_dual_add_nc_u32 v20, 1, v17
	scratch_store_b8 v17, v19, off offset:16
	v_mov_b32_e32 v17, v20
.LBB0_381:
	s_or_b32 exec_lo, exec_lo, s2
	v_and_b32_e32 v19, 0x200000, v18
	s_mov_b32 s2, exec_lo
	s_delay_alu instid0(VALU_DEP_1)
	v_cmpx_ne_u32_e32 0, v19
	s_cbranch_execz .LBB0_383
; %bb.382:
	v_dual_mov_b32 v19, 21 :: v_dual_add_nc_u32 v20, 1, v17
	scratch_store_b8 v17, v19, off offset:16
	v_mov_b32_e32 v17, v20
.LBB0_383:
	s_or_b32 exec_lo, exec_lo, s2
	v_and_b32_e32 v19, 0x400000, v18
	s_mov_b32 s2, exec_lo
	s_delay_alu instid0(VALU_DEP_1)
	v_cmpx_ne_u32_e32 0, v19
	s_cbranch_execz .LBB0_385
; %bb.384:
	v_dual_mov_b32 v19, 22 :: v_dual_add_nc_u32 v20, 1, v17
	scratch_store_b8 v17, v19, off offset:16
	v_mov_b32_e32 v17, v20
.LBB0_385:
	s_or_b32 exec_lo, exec_lo, s2
	v_and_b32_e32 v18, 0x800000, v18
	s_mov_b32 s2, exec_lo
	s_delay_alu instid0(VALU_DEP_1)
	v_cmpx_ne_u32_e32 0, v18
	s_cbranch_execz .LBB0_387
; %bb.386:
	v_dual_mov_b32 v18, 23 :: v_dual_add_nc_u32 v19, 1, v17
	scratch_store_b8 v17, v18, off offset:16
	v_mov_b32_e32 v17, v19
.LBB0_387:
	s_or_b32 exec_lo, exec_lo, s2
	s_mov_b32 s5, 0
	s_mov_b32 s4, exec_lo
	s_delay_alu instid0(VALU_DEP_1)
	v_cmpx_ne_u32_e32 0, v17
	s_cbranch_execz .LBB0_419
; %bb.388:
	v_add_f64 v[21:22], v[35:36], v[35:36]
	v_dual_mov_b32 v18, 0 :: v_dual_mov_b32 v53, 16
	s_mov_b32 s2, 0x55555555
	s_mov_b32 s3, 0x3fd55555
	s_delay_alu instid0(VALU_DEP_2) | instskip(SKIP_1) | instid1(VALU_DEP_2)
	v_mul_f64 v[19:20], v[21:22], 0.5
	v_fma_f64 v[25:26], v[21:22], 0.5, 0
	v_fma_f64 v[23:24], v[19:20], 0.5, v[7:8]
	s_delay_alu instid0(VALU_DEP_2) | instskip(NEXT) | instid1(VALU_DEP_2)
	v_fma_f64 v[25:26], v[21:22], 0.5, v[25:26]
	v_fma_f64 v[27:28], v[19:20], v[23:24], 0
	s_delay_alu instid0(VALU_DEP_2) | instskip(NEXT) | instid1(VALU_DEP_2)
	v_fma_f64 v[21:22], v[21:22], 0.5, v[25:26]
	v_fma_f64 v[27:28], v[19:20], v[23:24], v[27:28]
	s_delay_alu instid0(VALU_DEP_1)
	v_fma_f64 v[23:24], v[19:20], v[23:24], v[27:28]
	s_branch .LBB0_391
.LBB0_389:                              ;   in Loop: Header=BB0_391 Depth=1
	s_or_b32 exec_lo, exec_lo, s7
	s_delay_alu instid0(VALU_DEP_2) | instskip(NEXT) | instid1(VALU_DEP_2)
	v_mov_b32_e32 v55, v54
	v_mov_b32_e32 v54, v66
.LBB0_390:                              ;   in Loop: Header=BB0_391 Depth=1
	s_or_b32 exec_lo, exec_lo, s6
	s_delay_alu instid0(VALU_DEP_1) | instskip(NEXT) | instid1(VALU_DEP_2)
	v_lshl_add_u32 v54, v54, 3, 0xf0
	v_lshl_add_u32 v68, v55, 3, 0xf0
	s_waitcnt vmcnt(6)
	v_add_f64 v[25:26], v[25:26], v[41:42]
	s_waitcnt vmcnt(2)
	v_add_f64 v[41:42], v[47:48], v[51:52]
	v_add_co_u32 v17, vcc_lo, v17, -1
	v_add_nc_u32_e32 v56, 64, v54
	v_add_nc_u32_e32 v66, 64, v68
	v_add_co_ci_u32_e32 v18, vcc_lo, -1, v18, vcc_lo
	v_add_nc_u32_e32 v53, 1, v53
	s_clause 0x3
	scratch_load_b64 v[56:57], v56, off
	scratch_load_b64 v[54:55], v54, off
	;; [unrolled: 1-line block ×4, first 2 shown]
	v_cmp_eq_u64_e32 vcc_lo, 0, v[17:18]
	s_or_b32 s5, vcc_lo, s5
	v_add_f64 v[25:26], v[25:26], v[27:28]
	s_waitcnt vmcnt(5)
	v_add_f64 v[27:28], v[41:42], v[49:50]
	s_delay_alu instid0(VALU_DEP_2) | instskip(SKIP_1) | instid1(VALU_DEP_2)
	v_add_f64 v[25:26], v[25:26], v[43:44]
	s_waitcnt vmcnt(4)
	v_add_f64 v[27:28], v[27:28], v[45:46]
	s_delay_alu instid0(VALU_DEP_2) | instskip(NEXT) | instid1(VALU_DEP_2)
	v_fma_f64 v[25:26], 0x3fd00000, v[25:26], -v[1:2]
	v_fma_f64 v[27:28], 0x3fd00000, v[27:28], -v[5:6]
	s_delay_alu instid0(VALU_DEP_2)
	v_mul_f64 v[25:26], v[33:34], v[25:26]
	s_waitcnt vmcnt(2)
	v_add_f64 v[43:44], v[54:55], -v[1:2]
	v_add_f64 v[41:42], v[56:57], -v[5:6]
	s_waitcnt vmcnt(1)
	v_add_f64 v[45:46], v[66:67], -v[5:6]
	s_waitcnt vmcnt(0)
	v_add_f64 v[47:48], v[68:69], -v[1:2]
	s_delay_alu instid0(VALU_DEP_4) | instskip(NEXT) | instid1(VALU_DEP_4)
	v_fma_f64 v[49:50], -v[33:34], v[43:44], v[25:26]
	v_mul_f64 v[41:42], v[31:32], v[41:42]
	s_delay_alu instid0(VALU_DEP_4) | instskip(NEXT) | instid1(VALU_DEP_4)
	v_mul_f64 v[51:52], v[31:32], v[45:46]
	v_mul_f64 v[56:57], v[33:34], v[47:48]
	v_fma_f64 v[66:67], v[33:34], v[47:48], v[25:26]
	v_fma_f64 v[47:48], v[33:34], v[47:48], -v[25:26]
	v_fma_f64 v[70:71], v[33:34], v[43:44], v[25:26]
	v_fma_f64 v[54:55], v[31:32], v[27:28], v[41:42]
	;; [unrolled: 1-line block ×3, first 2 shown]
	v_fma_f64 v[72:73], v[33:34], v[43:44], -v[56:57]
	v_fma_f64 v[66:67], v[37:38], v[66:67], v[1:2]
	v_fma_f64 v[45:46], v[31:32], v[45:46], v[41:42]
	v_mul_f64 v[49:50], v[49:50], v[54:55]
	v_fma_f64 v[54:55], v[39:40], v[54:55], v[5:6]
	s_delay_alu instid0(VALU_DEP_4) | instskip(NEXT) | instid1(VALU_DEP_3)
	v_fma_f64 v[66:67], v[19:20], v[66:67], 0
	v_fma_f64 v[47:48], v[47:48], v[68:69], v[49:50]
	;; [unrolled: 1-line block ×5, first 2 shown]
	v_mul_f64 v[43:44], v[33:34], v[43:44]
	v_fma_f64 v[47:48], v[72:73], v[45:46], v[47:48]
	v_fma_f64 v[49:50], v[19:20], v[49:50], 0
	;; [unrolled: 1-line block ×5, first 2 shown]
	ds_store_2addr_b64 v0, v[56:57], v[43:44] offset1:2
	ds_store_2addr_b64 v0, v[51:52], v[41:42] offset0:10 offset1:12
	ds_store_2addr_b64 v0, v[35:36], v[35:36] offset0:20 offset1:22
	v_mul_f64 v[47:48], v[47:48], 0.5
	v_fma_f64 v[49:50], v[19:20], v[54:55], v[49:50]
	v_fma_f64 v[54:55], v[19:20], v[70:71], v[66:67]
	s_delay_alu instid0(VALU_DEP_3) | instskip(NEXT) | instid1(VALU_DEP_3)
	v_mul_f64 v[47:48], v[47:48], s[2:3]
	v_fma_f64 v[45:46], v[19:20], v[45:46], v[49:50]
	s_delay_alu instid0(VALU_DEP_2) | instskip(NEXT) | instid1(VALU_DEP_4)
	v_fma_f64 v[49:50], v[21:22], v[47:48], 0
	v_fma_f64 v[54:55], v[54:55], v[47:48], 0
	s_delay_alu instid0(VALU_DEP_3) | instskip(SKIP_1) | instid1(VALU_DEP_4)
	v_fma_f64 v[45:46], v[47:48], v[45:46], 0
	v_fma_f64 v[47:48], v[23:24], v[47:48], 0
	v_fma_f64 v[13:14], v[3:4], v[49:50], v[13:14]
	s_delay_alu instid0(VALU_DEP_4) | instskip(NEXT) | instid1(VALU_DEP_4)
	v_fma_f64 v[15:16], v[3:4], v[54:55], v[15:16]
	v_fma_f64 v[9:10], v[3:4], v[45:46], v[9:10]
	s_delay_alu instid0(VALU_DEP_4)
	v_fma_f64 v[11:12], v[3:4], v[47:48], v[11:12]
	s_and_not1_b32 exec_lo, exec_lo, s5
	s_cbranch_execz .LBB0_418
.LBB0_391:                              ; =>This Inner Loop Header: Depth=1
	scratch_load_u8 v55, v53, off
	s_mov_b32 s6, exec_lo
                                        ; implicit-def: $vgpr57
                                        ; implicit-def: $vgpr43
                                        ; implicit-def: $vgpr56
                                        ; implicit-def: $vgpr27
                                        ; implicit-def: $vgpr66
                                        ; implicit-def: $vgpr28
                                        ; implicit-def: $vgpr25
	s_waitcnt vmcnt(0)
	v_lshrrev_b32_e32 v54, 2, v55
	s_delay_alu instid0(VALU_DEP_1)
	v_cmpx_lt_i32_e32 1, v54
	s_xor_b32 s6, exec_lo, s6
	s_cbranch_execz .LBB0_405
; %bb.392:                              ;   in Loop: Header=BB0_391 Depth=1
	s_mov_b32 s7, exec_lo
                                        ; implicit-def: $vgpr57
                                        ; implicit-def: $vgpr43
                                        ; implicit-def: $vgpr56
                                        ; implicit-def: $vgpr27
                                        ; implicit-def: $vgpr66
                                        ; implicit-def: $vgpr28
                                        ; implicit-def: $vgpr25
	v_cmpx_lt_i32_e32 2, v54
	s_xor_b32 s7, exec_lo, s7
	s_cbranch_execz .LBB0_402
; %bb.393:                              ;   in Loop: Header=BB0_391 Depth=1
	s_mov_b32 s8, exec_lo
                                        ; implicit-def: $vgpr57
                                        ; implicit-def: $vgpr43
                                        ; implicit-def: $vgpr56
                                        ; implicit-def: $vgpr27
                                        ; implicit-def: $vgpr66
                                        ; implicit-def: $vgpr28
                                        ; implicit-def: $vgpr25
	v_cmpx_lt_i32_e32 3, v54
	s_xor_b32 s8, exec_lo, s8
	s_cbranch_execz .LBB0_399
; %bb.394:                              ;   in Loop: Header=BB0_391 Depth=1
	s_mov_b32 s9, exec_lo
                                        ; implicit-def: $sgpr10
                                        ; implicit-def: $sgpr11
                                        ; implicit-def: $sgpr12
                                        ; implicit-def: $sgpr13
	v_cmpx_ne_u32_e32 4, v54
	s_xor_b32 s9, exec_lo, s9
; %bb.395:                              ;   in Loop: Header=BB0_391 Depth=1
	s_mov_b32 s13, 4
	s_mov_b32 s12, 6
	;; [unrolled: 1-line block ×4, first 2 shown]
; %bb.396:                              ;   in Loop: Header=BB0_391 Depth=1
	s_or_saveexec_b32 s9, s9
	v_dual_mov_b32 v57, s10 :: v_dual_mov_b32 v56, s11
	v_dual_mov_b32 v66, s12 :: v_dual_mov_b32 v43, v58
	;; [unrolled: 1-line block ×4, first 2 shown]
	s_xor_b32 exec_lo, exec_lo, s9
; %bb.397:                              ;   in Loop: Header=BB0_391 Depth=1
	v_dual_mov_b32 v25, 0xf0 :: v_dual_mov_b32 v56, 3
	v_dual_mov_b32 v57, 2 :: v_dual_mov_b32 v66, 1
	;; [unrolled: 1-line block ×4, first 2 shown]
; %bb.398:                              ;   in Loop: Header=BB0_391 Depth=1
	s_or_b32 exec_lo, exec_lo, s9
.LBB0_399:                              ;   in Loop: Header=BB0_391 Depth=1
	s_and_not1_saveexec_b32 s8, s8
; %bb.400:                              ;   in Loop: Header=BB0_391 Depth=1
	v_dual_mov_b32 v57, 6 :: v_dual_mov_b32 v56, 7
	v_dual_mov_b32 v66, 3 :: v_dual_mov_b32 v43, v60
	;; [unrolled: 1-line block ×4, first 2 shown]
; %bb.401:                              ;   in Loop: Header=BB0_391 Depth=1
	s_or_b32 exec_lo, exec_lo, s8
.LBB0_402:                              ;   in Loop: Header=BB0_391 Depth=1
	s_and_not1_saveexec_b32 s7, s7
; %bb.403:                              ;   in Loop: Header=BB0_391 Depth=1
	v_dual_mov_b32 v25, 0xf0 :: v_dual_mov_b32 v56, 5
	v_dual_mov_b32 v57, 1 :: v_dual_mov_b32 v66, 4
	;; [unrolled: 1-line block ×4, first 2 shown]
; %bb.404:                              ;   in Loop: Header=BB0_391 Depth=1
	s_or_b32 exec_lo, exec_lo, s7
.LBB0_405:                              ;   in Loop: Header=BB0_391 Depth=1
	s_and_not1_saveexec_b32 s6, s6
	s_cbranch_execz .LBB0_409
; %bb.406:                              ;   in Loop: Header=BB0_391 Depth=1
	v_dual_mov_b32 v25, 0xf0 :: v_dual_mov_b32 v56, 6
	v_dual_mov_b32 v57, 4 :: v_dual_mov_b32 v66, 2
	v_mov_b32_e32 v43, v63
	v_dual_mov_b32 v27, v60 :: v_dual_mov_b32 v28, v59
	s_mov_b32 s7, exec_lo
	v_cmpx_lt_i32_e32 0, v54
; %bb.407:                              ;   in Loop: Header=BB0_391 Depth=1
	v_dual_mov_b32 v57, 3 :: v_dual_mov_b32 v56, 7
	v_dual_mov_b32 v66, 5 :: v_dual_mov_b32 v43, v62
	;; [unrolled: 1-line block ×4, first 2 shown]
; %bb.408:                              ;   in Loop: Header=BB0_391 Depth=1
	s_or_b32 exec_lo, exec_lo, s7
.LBB0_409:                              ;   in Loop: Header=BB0_391 Depth=1
	s_delay_alu instid0(SALU_CYCLE_1) | instskip(NEXT) | instid1(VALU_DEP_2)
	s_or_b32 exec_lo, exec_lo, s6
	v_lshl_add_u32 v45, v54, 3, v65
	v_lshl_add_u32 v46, v66, 3, v65
	;; [unrolled: 1-line block ×4, first 2 shown]
	scratch_load_b64 v[25:26], v25, off
	scratch_load_b64 v[41:42], v28, off
	scratch_load_b64 v[27:28], v27, off
	scratch_load_b64 v[43:44], v43, off
	s_clause 0x3
	scratch_load_b64 v[47:48], v45, off
	scratch_load_b64 v[51:52], v46, off
	;; [unrolled: 1-line block ×4, first 2 shown]
	v_and_b32_e32 v67, 3, v55
	s_mov_b32 s6, exec_lo
                                        ; implicit-def: $vgpr55
	s_delay_alu instid0(VALU_DEP_1)
	v_cmpx_lt_i32_e32 1, v67
	s_xor_b32 s6, exec_lo, s6
	s_cbranch_execz .LBB0_415
; %bb.410:                              ;   in Loop: Header=BB0_391 Depth=1
	s_mov_b32 s7, exec_lo
	v_cmpx_lt_i32_e32 2, v67
	s_xor_b32 s7, exec_lo, s7
; %bb.411:                              ;   in Loop: Header=BB0_391 Depth=1
                                        ; implicit-def: $vgpr56
; %bb.412:                              ;   in Loop: Header=BB0_391 Depth=1
	s_delay_alu instid0(SALU_CYCLE_1)
	s_or_saveexec_b32 s7, s7
	v_mov_b32_e32 v55, v57
	s_xor_b32 exec_lo, exec_lo, s7
; %bb.413:                              ;   in Loop: Header=BB0_391 Depth=1
	v_dual_mov_b32 v55, v56 :: v_dual_mov_b32 v54, v57
; %bb.414:                              ;   in Loop: Header=BB0_391 Depth=1
	s_or_b32 exec_lo, exec_lo, s7
                                        ; implicit-def: $vgpr66
                                        ; implicit-def: $vgpr56
                                        ; implicit-def: $vgpr67
.LBB0_415:                              ;   in Loop: Header=BB0_391 Depth=1
	s_and_not1_saveexec_b32 s6, s6
	s_cbranch_execz .LBB0_390
; %bb.416:                              ;   in Loop: Header=BB0_391 Depth=1
	s_mov_b32 s7, exec_lo
	v_cmpx_eq_u32_e32 1, v67
	s_cbranch_execz .LBB0_389
; %bb.417:                              ;   in Loop: Header=BB0_391 Depth=1
	v_mov_b32_e32 v54, v66
	v_mov_b32_e32 v66, v56
	s_branch .LBB0_389
.LBB0_418:
	s_or_b32 exec_lo, exec_lo, s5
	v_mul_f64 v[17:18], v[31:32], v[27:28]
	ds_store_2addr_b64 v0, v[25:26], v[17:18] offset0:1 offset1:11
	ds_store_b64 v0, v[35:36] offset:168
.LBB0_419:
	s_or_b32 exec_lo, exec_lo, s4
	scratch_load_b32 v18, off, off
	s_waitcnt vmcnt(0)
	v_and_b32_e32 v17, 1, v18
	s_delay_alu instid0(VALU_DEP_1)
	v_cmp_eq_u32_e32 vcc_lo, 1, v17
	v_mov_b32_e32 v17, 0
	s_and_saveexec_b32 s2, vcc_lo
	s_cbranch_execz .LBB0_421
; %bb.420:
	v_mov_b32_e32 v19, 0
	v_mov_b32_e32 v17, 1
	scratch_store_b8 off, v19, off offset:16
.LBB0_421:
	s_or_b32 exec_lo, exec_lo, s2
	v_and_b32_e32 v19, 2, v18
	s_mov_b32 s2, exec_lo
	s_delay_alu instid0(VALU_DEP_1)
	v_cmpx_ne_u32_e32 0, v19
	s_cbranch_execz .LBB0_423
; %bb.422:
	v_add_nc_u32_e32 v19, 1, v17
	v_or_b32_e32 v20, 16, v17
	v_mov_b32_e32 v21, 1
	s_delay_alu instid0(VALU_DEP_3)
	v_mov_b32_e32 v17, v19
	scratch_store_b8 v20, v21, off
.LBB0_423:
	s_or_b32 exec_lo, exec_lo, s2
	v_and_b32_e32 v19, 4, v18
	s_mov_b32 s2, exec_lo
	s_delay_alu instid0(VALU_DEP_1)
	v_cmpx_ne_u32_e32 0, v19
	s_cbranch_execz .LBB0_425
; %bb.424:
	v_or_b32_e32 v19, 16, v17
	v_dual_mov_b32 v20, 2 :: v_dual_add_nc_u32 v17, 1, v17
	scratch_store_b8 v19, v20, off
.LBB0_425:
	s_or_b32 exec_lo, exec_lo, s2
	v_and_b32_e32 v19, 8, v18
	s_mov_b32 s2, exec_lo
	s_delay_alu instid0(VALU_DEP_1)
	v_cmpx_ne_u32_e32 0, v19
	s_cbranch_execz .LBB0_427
; %bb.426:
	v_or_b32_e32 v19, 16, v17
	v_dual_mov_b32 v20, 3 :: v_dual_add_nc_u32 v17, 1, v17
	scratch_store_b8 v19, v20, off
.LBB0_427:
	;; [unrolled: 11-line block ×3, first 2 shown]
	s_or_b32 exec_lo, exec_lo, s2
	v_and_b32_e32 v19, 32, v18
	s_mov_b32 s2, exec_lo
	s_delay_alu instid0(VALU_DEP_1)
	v_cmpx_ne_u32_e32 0, v19
	s_cbranch_execz .LBB0_431
; %bb.430:
	v_dual_mov_b32 v19, 5 :: v_dual_add_nc_u32 v20, 1, v17
	scratch_store_b8 v17, v19, off offset:16
	v_mov_b32_e32 v17, v20
.LBB0_431:
	s_or_b32 exec_lo, exec_lo, s2
	v_and_b32_e32 v19, 64, v18
	s_mov_b32 s2, exec_lo
	s_delay_alu instid0(VALU_DEP_1)
	v_cmpx_ne_u32_e32 0, v19
	s_cbranch_execz .LBB0_433
; %bb.432:
	v_dual_mov_b32 v19, 6 :: v_dual_add_nc_u32 v20, 1, v17
	scratch_store_b8 v17, v19, off offset:16
	v_mov_b32_e32 v17, v20
.LBB0_433:
	;; [unrolled: 11-line block ×19, first 2 shown]
	s_or_b32 exec_lo, exec_lo, s2
	s_mov_b32 s5, 0
	s_mov_b32 s4, exec_lo
	s_delay_alu instid0(VALU_DEP_1)
	v_cmpx_ne_u32_e32 0, v17
	s_cbranch_execz .LBB0_499
; %bb.468:
	v_dual_mov_b32 v18, 0 :: v_dual_mov_b32 v53, 16
	s_mov_b32 s2, 0x55555555
	s_mov_b32 s3, 0x3fd55555
	s_branch .LBB0_471
.LBB0_469:                              ;   in Loop: Header=BB0_471 Depth=1
	s_or_b32 exec_lo, exec_lo, s7
	s_delay_alu instid0(VALU_DEP_1)
	v_dual_mov_b32 v55, v54 :: v_dual_mov_b32 v54, v65
.LBB0_470:                              ;   in Loop: Header=BB0_471 Depth=1
	s_or_b32 exec_lo, exec_lo, s6
	s_delay_alu instid0(VALU_DEP_1) | instskip(NEXT) | instid1(VALU_DEP_2)
	v_lshl_add_u32 v71, v54, 3, 0xf0
	v_lshl_add_u32 v69, v55, 3, 0xf0
	s_waitcnt vmcnt(10)
	v_add_f64 v[19:20], v[19:20], v[21:22]
	s_waitcnt vmcnt(4)
	v_add_f64 v[21:22], v[27:28], v[49:50]
	v_add_co_u32 v17, vcc_lo, v17, -1
	v_add_nc_u32_e32 v54, 64, v71
	v_add_nc_u32_e32 v65, 64, v69
	;; [unrolled: 1-line block ×3, first 2 shown]
	v_add_co_ci_u32_e32 v18, vcc_lo, -1, v18, vcc_lo
	s_clause 0x4
	scratch_load_b64 v[56:57], v54, off
	scratch_load_b64 v[54:55], v71, off
	;; [unrolled: 1-line block ×5, first 2 shown]
	v_add_nc_u32_e32 v71, 0x80, v71
	v_cmp_eq_u64_e32 vcc_lo, 0, v[17:18]
	v_add_nc_u32_e32 v53, 1, v53
	scratch_load_b64 v[71:72], v71, off
	s_or_b32 s5, vcc_lo, s5
	v_add_f64 v[19:20], v[19:20], v[23:24]
	s_waitcnt vmcnt(9)
	v_add_f64 v[23:24], v[47:48], v[43:44]
	v_add_f64 v[21:22], v[21:22], v[35:36]
	s_delay_alu instid0(VALU_DEP_3) | instskip(SKIP_1) | instid1(VALU_DEP_3)
	v_add_f64 v[19:20], v[19:20], v[25:26]
	s_waitcnt vmcnt(6)
	v_add_f64 v[23:24], v[23:24], v[51:52]
	s_delay_alu instid0(VALU_DEP_3) | instskip(NEXT) | instid1(VALU_DEP_3)
	v_add_f64 v[21:22], v[21:22], v[45:46]
	v_fma_f64 v[19:20], 0x3fd00000, v[19:20], -v[1:2]
	s_delay_alu instid0(VALU_DEP_3) | instskip(NEXT) | instid1(VALU_DEP_3)
	v_add_f64 v[23:24], v[23:24], v[41:42]
	v_fma_f64 v[21:22], 0x3fd00000, v[21:22], -v[5:6]
	s_delay_alu instid0(VALU_DEP_3) | instskip(NEXT) | instid1(VALU_DEP_3)
	v_mul_f64 v[19:20], v[33:34], v[19:20]
	v_fma_f64 v[23:24], 0x3fd00000, v[23:24], -v[7:8]
	s_waitcnt vmcnt(4)
	v_add_f64 v[27:28], v[54:55], -v[1:2]
	s_waitcnt vmcnt(3)
	v_add_f64 v[35:36], v[65:66], -v[5:6]
	v_add_f64 v[25:26], v[56:57], -v[5:6]
	s_waitcnt vmcnt(2)
	v_add_f64 v[41:42], v[67:68], -v[7:8]
	s_waitcnt vmcnt(1)
	;; [unrolled: 2-line block ×3, first 2 shown]
	v_add_f64 v[51:52], v[71:72], -v[7:8]
	v_fma_f64 v[45:46], -v[33:34], v[27:28], v[19:20]
	v_mul_f64 v[47:48], v[31:32], v[35:36]
	v_mul_f64 v[25:26], v[31:32], v[25:26]
	v_add_f64 v[54:55], v[23:24], v[41:42]
	v_mul_f64 v[56:57], v[33:34], v[43:44]
	v_fma_f64 v[65:66], v[33:34], v[43:44], v[19:20]
	v_fma_f64 v[43:44], v[33:34], v[43:44], -v[19:20]
	v_fma_f64 v[73:74], v[33:34], v[27:28], v[19:20]
	v_add_f64 v[69:70], v[23:24], v[51:52]
	v_add_f64 v[75:76], v[41:42], v[51:52]
	v_fma_f64 v[67:68], v[31:32], v[21:22], v[47:48]
	v_fma_f64 v[49:50], v[31:32], v[21:22], v[25:26]
	v_mul_f64 v[71:72], v[54:55], 0.5
	v_fma_f64 v[77:78], v[33:34], v[27:28], -v[56:57]
	v_fma_f64 v[65:66], v[37:38], v[65:66], v[1:2]
	v_fma_f64 v[35:36], v[31:32], v[35:36], v[25:26]
	;; [unrolled: 1-line block ×4, first 2 shown]
	v_fma_f64 v[54:55], v[54:55], 0.5, 0
	v_mul_f64 v[83:84], v[75:76], 0.5
	v_mul_f64 v[27:28], v[33:34], v[27:28]
	v_mul_f64 v[45:46], v[45:46], v[49:50]
	v_fma_f64 v[79:80], v[71:72], 0.5, v[7:8]
	v_fma_f64 v[49:50], v[39:40], v[49:50], v[5:6]
	v_fma_f64 v[65:66], v[65:66], v[71:72], 0
	v_fma_f64 v[54:55], v[69:70], 0.5, v[54:55]
	ds_store_2addr_b64 v0, v[56:57], v[27:28] offset1:2
	ds_store_2addr_b64 v0, v[47:48], v[25:26] offset0:10 offset1:12
	ds_store_2addr_b64 v0, v[41:42], v[51:52] offset0:20 offset1:22
	v_fma_f64 v[43:44], v[43:44], v[67:68], v[45:46]
	v_mul_f64 v[45:46], v[69:70], 0.5
	v_fma_f64 v[67:68], v[39:40], v[67:68], v[5:6]
	v_fma_f64 v[69:70], v[83:84], 0.5, v[7:8]
	v_fma_f64 v[54:55], v[75:76], 0.5, v[54:55]
	v_fma_f64 v[43:44], v[77:78], v[35:36], v[43:44]
	v_fma_f64 v[77:78], v[45:46], 0.5, v[7:8]
	v_fma_f64 v[67:68], v[67:68], v[71:72], 0
	v_fma_f64 v[71:72], v[71:72], v[79:80], 0
	;; [unrolled: 1-line block ×5, first 2 shown]
	v_mul_f64 v[43:44], v[43:44], 0.5
	v_fma_f64 v[49:50], v[49:50], v[45:46], v[67:68]
	v_fma_f64 v[45:46], v[45:46], v[77:78], v[71:72]
	s_delay_alu instid0(VALU_DEP_4) | instskip(NEXT) | instid1(VALU_DEP_4)
	v_fma_f64 v[65:66], v[79:80], v[83:84], v[65:66]
	v_mul_f64 v[43:44], v[43:44], s[2:3]
	s_delay_alu instid0(VALU_DEP_4) | instskip(NEXT) | instid1(VALU_DEP_4)
	v_fma_f64 v[35:36], v[35:36], v[83:84], v[49:50]
	v_fma_f64 v[45:46], v[83:84], v[69:70], v[45:46]
	s_delay_alu instid0(VALU_DEP_3) | instskip(SKIP_1) | instid1(VALU_DEP_4)
	v_fma_f64 v[49:50], v[43:44], v[54:55], 0
	v_fma_f64 v[54:55], v[43:44], v[65:66], 0
	v_fma_f64 v[35:36], v[43:44], v[35:36], 0
	s_delay_alu instid0(VALU_DEP_4) | instskip(NEXT) | instid1(VALU_DEP_4)
	v_fma_f64 v[43:44], v[43:44], v[45:46], 0
	v_fma_f64 v[13:14], v[3:4], v[49:50], v[13:14]
	s_delay_alu instid0(VALU_DEP_4) | instskip(NEXT) | instid1(VALU_DEP_4)
	v_fma_f64 v[15:16], v[3:4], v[54:55], v[15:16]
	v_fma_f64 v[9:10], v[3:4], v[35:36], v[9:10]
	s_delay_alu instid0(VALU_DEP_4)
	v_fma_f64 v[11:12], v[3:4], v[43:44], v[11:12]
	s_and_not1_b32 exec_lo, exec_lo, s5
	s_cbranch_execz .LBB0_498
.LBB0_471:                              ; =>This Inner Loop Header: Depth=1
	scratch_load_u8 v55, v53, off
	s_mov_b32 s6, exec_lo
                                        ; implicit-def: $vgpr57
                                        ; implicit-def: $vgpr25
                                        ; implicit-def: $vgpr56
                                        ; implicit-def: $vgpr23
                                        ; implicit-def: $vgpr65
                                        ; implicit-def: $vgpr21
                                        ; implicit-def: $vgpr19
	s_waitcnt vmcnt(0)
	v_lshrrev_b32_e32 v54, 2, v55
	s_delay_alu instid0(VALU_DEP_1)
	v_cmpx_lt_i32_e32 1, v54
	s_xor_b32 s6, exec_lo, s6
	s_cbranch_execz .LBB0_485
; %bb.472:                              ;   in Loop: Header=BB0_471 Depth=1
	s_mov_b32 s7, exec_lo
                                        ; implicit-def: $vgpr57
                                        ; implicit-def: $vgpr25
                                        ; implicit-def: $vgpr56
                                        ; implicit-def: $vgpr23
                                        ; implicit-def: $vgpr65
                                        ; implicit-def: $vgpr21
                                        ; implicit-def: $vgpr19
	v_cmpx_lt_i32_e32 2, v54
	s_xor_b32 s7, exec_lo, s7
	s_cbranch_execz .LBB0_482
; %bb.473:                              ;   in Loop: Header=BB0_471 Depth=1
	s_mov_b32 s8, exec_lo
                                        ; implicit-def: $vgpr57
                                        ; implicit-def: $vgpr25
                                        ; implicit-def: $vgpr56
                                        ; implicit-def: $vgpr23
                                        ; implicit-def: $vgpr65
                                        ; implicit-def: $vgpr21
                                        ; implicit-def: $vgpr19
	v_cmpx_lt_i32_e32 3, v54
	s_xor_b32 s8, exec_lo, s8
	s_cbranch_execz .LBB0_479
; %bb.474:                              ;   in Loop: Header=BB0_471 Depth=1
	s_mov_b32 s9, exec_lo
                                        ; implicit-def: $sgpr10
                                        ; implicit-def: $sgpr11
                                        ; implicit-def: $sgpr12
                                        ; implicit-def: $sgpr13
	v_cmpx_ne_u32_e32 4, v54
	s_xor_b32 s9, exec_lo, s9
; %bb.475:                              ;   in Loop: Header=BB0_471 Depth=1
	s_mov_b32 s13, 4
	s_mov_b32 s12, 6
	;; [unrolled: 1-line block ×4, first 2 shown]
; %bb.476:                              ;   in Loop: Header=BB0_471 Depth=1
	s_or_saveexec_b32 s9, s9
	v_dual_mov_b32 v57, s10 :: v_dual_mov_b32 v56, s11
	v_dual_mov_b32 v65, s12 :: v_dual_mov_b32 v54, s13
	v_mov_b32_e32 v25, v58
	v_mov_b32_e32 v23, v64
	;; [unrolled: 1-line block ×4, first 2 shown]
	s_xor_b32 exec_lo, exec_lo, s9
; %bb.477:                              ;   in Loop: Header=BB0_471 Depth=1
	v_dual_mov_b32 v19, 0xf0 :: v_dual_mov_b32 v56, 3
	v_dual_mov_b32 v57, 2 :: v_dual_mov_b32 v54, 0
	v_mov_b32_e32 v65, 1
	v_mov_b32_e32 v25, v59
	;; [unrolled: 1-line block ×4, first 2 shown]
; %bb.478:                              ;   in Loop: Header=BB0_471 Depth=1
	s_or_b32 exec_lo, exec_lo, s9
.LBB0_479:                              ;   in Loop: Header=BB0_471 Depth=1
	s_and_not1_saveexec_b32 s8, s8
; %bb.480:                              ;   in Loop: Header=BB0_471 Depth=1
	v_dual_mov_b32 v57, 6 :: v_dual_mov_b32 v56, 7
	v_dual_mov_b32 v65, 3 :: v_dual_mov_b32 v54, 2
	v_mov_b32_e32 v25, v60
	v_mov_b32_e32 v23, v64
	;; [unrolled: 1-line block ×4, first 2 shown]
; %bb.481:                              ;   in Loop: Header=BB0_471 Depth=1
	s_or_b32 exec_lo, exec_lo, s8
.LBB0_482:                              ;   in Loop: Header=BB0_471 Depth=1
	s_and_not1_saveexec_b32 s7, s7
; %bb.483:                              ;   in Loop: Header=BB0_471 Depth=1
	v_dual_mov_b32 v19, 0xf0 :: v_dual_mov_b32 v56, 5
	v_dual_mov_b32 v57, 1 :: v_dual_mov_b32 v54, 0
	v_mov_b32_e32 v65, 4
	v_mov_b32_e32 v25, v61
	;; [unrolled: 1-line block ×4, first 2 shown]
; %bb.484:                              ;   in Loop: Header=BB0_471 Depth=1
	s_or_b32 exec_lo, exec_lo, s7
.LBB0_485:                              ;   in Loop: Header=BB0_471 Depth=1
	s_and_not1_saveexec_b32 s6, s6
	s_cbranch_execz .LBB0_489
; %bb.486:                              ;   in Loop: Header=BB0_471 Depth=1
	v_dual_mov_b32 v19, 0xf0 :: v_dual_mov_b32 v56, 6
	v_mov_b32_e32 v57, 4
	v_mov_b32_e32 v65, 2
	;; [unrolled: 1-line block ×5, first 2 shown]
	s_mov_b32 s7, exec_lo
	v_cmpx_lt_i32_e32 0, v54
; %bb.487:                              ;   in Loop: Header=BB0_471 Depth=1
	v_dual_mov_b32 v57, 3 :: v_dual_mov_b32 v56, 7
	v_dual_mov_b32 v65, 5 :: v_dual_mov_b32 v54, 1
	v_mov_b32_e32 v25, v62
	v_mov_b32_e32 v23, v64
	;; [unrolled: 1-line block ×4, first 2 shown]
; %bb.488:                              ;   in Loop: Header=BB0_471 Depth=1
	s_or_b32 exec_lo, exec_lo, s7
.LBB0_489:                              ;   in Loop: Header=BB0_471 Depth=1
	s_delay_alu instid0(SALU_CYCLE_1)
	s_or_b32 exec_lo, exec_lo, s6
	v_lshl_add_u32 v51, v56, 3, 0xf0
	v_lshl_add_u32 v41, v54, 3, 0xf0
	;; [unrolled: 1-line block ×4, first 2 shown]
	scratch_load_b64 v[19:20], v19, off
	scratch_load_b64 v[21:22], v21, off
	;; [unrolled: 1-line block ×4, first 2 shown]
	s_clause 0x7
	scratch_load_b64 v[27:28], v41, off offset:64
	scratch_load_b64 v[35:36], v51, off offset:64
	;; [unrolled: 1-line block ×8, first 2 shown]
	v_and_b32_e32 v66, 3, v55
	s_mov_b32 s6, exec_lo
                                        ; implicit-def: $vgpr55
	s_delay_alu instid0(VALU_DEP_1)
	v_cmpx_lt_i32_e32 1, v66
	s_xor_b32 s6, exec_lo, s6
	s_cbranch_execz .LBB0_495
; %bb.490:                              ;   in Loop: Header=BB0_471 Depth=1
	s_mov_b32 s7, exec_lo
	v_cmpx_lt_i32_e32 2, v66
	s_xor_b32 s7, exec_lo, s7
; %bb.491:                              ;   in Loop: Header=BB0_471 Depth=1
                                        ; implicit-def: $vgpr56
; %bb.492:                              ;   in Loop: Header=BB0_471 Depth=1
	s_delay_alu instid0(SALU_CYCLE_1)
	s_or_saveexec_b32 s7, s7
	v_mov_b32_e32 v55, v57
	s_xor_b32 exec_lo, exec_lo, s7
; %bb.493:                              ;   in Loop: Header=BB0_471 Depth=1
	v_dual_mov_b32 v55, v56 :: v_dual_mov_b32 v54, v57
; %bb.494:                              ;   in Loop: Header=BB0_471 Depth=1
	s_or_b32 exec_lo, exec_lo, s7
                                        ; implicit-def: $vgpr65
                                        ; implicit-def: $vgpr56
                                        ; implicit-def: $vgpr66
.LBB0_495:                              ;   in Loop: Header=BB0_471 Depth=1
	s_and_not1_saveexec_b32 s6, s6
	s_cbranch_execz .LBB0_470
; %bb.496:                              ;   in Loop: Header=BB0_471 Depth=1
	s_mov_b32 s7, exec_lo
	v_cmpx_eq_u32_e32 1, v66
	s_cbranch_execz .LBB0_469
; %bb.497:                              ;   in Loop: Header=BB0_471 Depth=1
	v_dual_mov_b32 v54, v65 :: v_dual_mov_b32 v65, v56
	s_branch .LBB0_469
.LBB0_498:
	s_or_b32 exec_lo, exec_lo, s5
	v_mul_f64 v[1:2], v[31:32], v[21:22]
	ds_store_2addr_b64 v0, v[19:20], v[1:2] offset0:1 offset1:11
	ds_store_b64 v0, v[23:24] offset:168
.LBB0_499:
	s_or_b32 exec_lo, exec_lo, s4
	s_load_b64 s[0:1], s[0:1], 0x40
	v_lshlrev_b64 v[0:1], 5, v[29:30]
	s_waitcnt lgkmcnt(0)
	s_delay_alu instid0(VALU_DEP_1) | instskip(NEXT) | instid1(VALU_DEP_2)
	v_add_co_u32 v0, vcc_lo, s0, v0
	v_add_co_ci_u32_e32 v1, vcc_lo, s1, v1, vcc_lo
	s_clause 0x1
	global_store_b128 v[0:1], v[13:16], off
	global_store_b128 v[0:1], v[9:12], off offset:16
.LBB0_500:
	s_endpgm
	.section	.rodata,"a",@progbits
	.p2align	6, 0x0
	.amdhsa_kernel _ZN8rajaperf4apps17intsc_hexrect_hipILm64EEEvPdS2_S2_PiPcS3_S3_lS2_
		.amdhsa_group_segment_fixed_size 15872
		.amdhsa_private_segment_fixed_size 448
		.amdhsa_kernarg_size 72
		.amdhsa_user_sgpr_count 15
		.amdhsa_user_sgpr_dispatch_ptr 0
		.amdhsa_user_sgpr_queue_ptr 0
		.amdhsa_user_sgpr_kernarg_segment_ptr 1
		.amdhsa_user_sgpr_dispatch_id 0
		.amdhsa_user_sgpr_private_segment_size 0
		.amdhsa_wavefront_size32 1
		.amdhsa_uses_dynamic_stack 0
		.amdhsa_enable_private_segment 1
		.amdhsa_system_sgpr_workgroup_id_x 1
		.amdhsa_system_sgpr_workgroup_id_y 0
		.amdhsa_system_sgpr_workgroup_id_z 0
		.amdhsa_system_sgpr_workgroup_info 0
		.amdhsa_system_vgpr_workitem_id 0
		.amdhsa_next_free_vgpr 111
		.amdhsa_next_free_sgpr 22
		.amdhsa_reserve_vcc 1
		.amdhsa_float_round_mode_32 0
		.amdhsa_float_round_mode_16_64 0
		.amdhsa_float_denorm_mode_32 3
		.amdhsa_float_denorm_mode_16_64 3
		.amdhsa_dx10_clamp 1
		.amdhsa_ieee_mode 1
		.amdhsa_fp16_overflow 0
		.amdhsa_workgroup_processor_mode 1
		.amdhsa_memory_ordered 1
		.amdhsa_forward_progress 0
		.amdhsa_shared_vgpr_count 0
		.amdhsa_exception_fp_ieee_invalid_op 0
		.amdhsa_exception_fp_denorm_src 0
		.amdhsa_exception_fp_ieee_div_zero 0
		.amdhsa_exception_fp_ieee_overflow 0
		.amdhsa_exception_fp_ieee_underflow 0
		.amdhsa_exception_fp_ieee_inexact 0
		.amdhsa_exception_int_div_zero 0
	.end_amdhsa_kernel
	.section	.text._ZN8rajaperf4apps17intsc_hexrect_hipILm64EEEvPdS2_S2_PiPcS3_S3_lS2_,"axG",@progbits,_ZN8rajaperf4apps17intsc_hexrect_hipILm64EEEvPdS2_S2_PiPcS3_S3_lS2_,comdat
.Lfunc_end0:
	.size	_ZN8rajaperf4apps17intsc_hexrect_hipILm64EEEvPdS2_S2_PiPcS3_S3_lS2_, .Lfunc_end0-_ZN8rajaperf4apps17intsc_hexrect_hipILm64EEEvPdS2_S2_PiPcS3_S3_lS2_
                                        ; -- End function
	.section	.AMDGPU.csdata,"",@progbits
; Kernel info:
; codeLenInByte = 23880
; NumSgprs: 24
; NumVgprs: 111
; ScratchSize: 448
; MemoryBound: 0
; FloatMode: 240
; IeeeMode: 1
; LDSByteSize: 15872 bytes/workgroup (compile time only)
; SGPRBlocks: 2
; VGPRBlocks: 13
; NumSGPRsForWavesPerEU: 24
; NumVGPRsForWavesPerEU: 111
; Occupancy: 4
; WaveLimiterHint : 1
; COMPUTE_PGM_RSRC2:SCRATCH_EN: 1
; COMPUTE_PGM_RSRC2:USER_SGPR: 15
; COMPUTE_PGM_RSRC2:TRAP_HANDLER: 0
; COMPUTE_PGM_RSRC2:TGID_X_EN: 1
; COMPUTE_PGM_RSRC2:TGID_Y_EN: 0
; COMPUTE_PGM_RSRC2:TGID_Z_EN: 0
; COMPUTE_PGM_RSRC2:TIDIG_COMP_CNT: 0
	.section	.text._ZN8rajaperf17lambda_hip_forallILm64EZNS_4apps13INTSC_HEXRECT17runHipVariantImplILm64EEEvNS_9VariantIDEEUllE_EEvllT0_,"axG",@progbits,_ZN8rajaperf17lambda_hip_forallILm64EZNS_4apps13INTSC_HEXRECT17runHipVariantImplILm64EEEvNS_9VariantIDEEUllE_EEvllT0_,comdat
	.protected	_ZN8rajaperf17lambda_hip_forallILm64EZNS_4apps13INTSC_HEXRECT17runHipVariantImplILm64EEEvNS_9VariantIDEEUllE_EEvllT0_ ; -- Begin function _ZN8rajaperf17lambda_hip_forallILm64EZNS_4apps13INTSC_HEXRECT17runHipVariantImplILm64EEEvNS_9VariantIDEEUllE_EEvllT0_
	.globl	_ZN8rajaperf17lambda_hip_forallILm64EZNS_4apps13INTSC_HEXRECT17runHipVariantImplILm64EEEvNS_9VariantIDEEUllE_EEvllT0_
	.p2align	8
	.type	_ZN8rajaperf17lambda_hip_forallILm64EZNS_4apps13INTSC_HEXRECT17runHipVariantImplILm64EEEvNS_9VariantIDEEUllE_EEvllT0_,@function
_ZN8rajaperf17lambda_hip_forallILm64EZNS_4apps13INTSC_HEXRECT17runHipVariantImplILm64EEEvNS_9VariantIDEEUllE_EEvllT0_: ; @_ZN8rajaperf17lambda_hip_forallILm64EZNS_4apps13INTSC_HEXRECT17runHipVariantImplILm64EEEvNS_9VariantIDEEUllE_EEvllT0_
; %bb.0:
	s_load_b128 s[4:7], s[0:1], 0x0
	s_mov_b32 s2, s15
	s_mov_b32 s3, 0
	s_delay_alu instid0(SALU_CYCLE_1) | instskip(SKIP_2) | instid1(VALU_DEP_1)
	s_lshl_b64 s[2:3], s[2:3], 6
	s_waitcnt lgkmcnt(0)
	v_add_co_u32 v41, s4, v0, s4
	v_add_co_ci_u32_e64 v0, null, 0, s5, s4
	s_delay_alu instid0(VALU_DEP_2) | instskip(NEXT) | instid1(VALU_DEP_2)
	v_add_co_u32 v28, vcc_lo, v41, s2
	v_add_co_ci_u32_e32 v29, vcc_lo, s3, v0, vcc_lo
	s_mov_b32 s2, exec_lo
	s_delay_alu instid0(VALU_DEP_1)
	v_cmpx_gt_i64_e64 s[6:7], v[28:29]
	s_cbranch_execz .LBB1_501
; %bb.1:
	s_load_b64 s[2:3], s[0:1], 0x10
	s_waitcnt lgkmcnt(0)
	v_cmp_gt_i64_e32 vcc_lo, s[2:3], v[28:29]
	s_and_b32 exec_lo, exec_lo, vcc_lo
	s_cbranch_execz .LBB1_501
; %bb.2:
	s_load_b512 s[12:27], s[0:1], 0x18
	v_lshlrev_b64 v[8:9], 2, v[28:29]
	s_mov_b32 s11, 0
	s_waitcnt lgkmcnt(0)
	s_delay_alu instid0(VALU_DEP_1) | instskip(NEXT) | instid1(VALU_DEP_2)
	v_add_co_u32 v0, vcc_lo, s14, v8
	v_add_co_ci_u32_e32 v1, vcc_lo, s15, v9, vcc_lo
	s_mov_b64 s[14:15], 0
	global_load_b32 v0, v[0:1], off
	s_waitcnt vmcnt(0)
	v_lshlrev_b32_e32 v0, 3, v0
	s_delay_alu instid0(VALU_DEP_1) | instskip(NEXT) | instid1(VALU_DEP_1)
	v_ashrrev_i32_e32 v1, 31, v0
	v_lshlrev_b64 v[0:1], 2, v[0:1]
	s_delay_alu instid0(VALU_DEP_1) | instskip(NEXT) | instid1(VALU_DEP_2)
	v_add_co_u32 v4, vcc_lo, s16, v0
	v_add_co_ci_u32_e32 v5, vcc_lo, s17, v1, vcc_lo
	v_add_co_u32 v8, vcc_lo, s26, v8
	v_add_co_ci_u32_e32 v9, vcc_lo, s27, v9, vcc_lo
	s_clause 0x1
	global_load_b128 v[0:3], v[4:5], off
	global_load_b128 v[4:7], v[4:5], off offset:16
	global_load_b32 v40, v[8:9], off
	s_waitcnt vmcnt(2)
	v_ashrrev_i32_e32 v9, 31, v0
	v_mov_b32_e32 v8, v0
	v_ashrrev_i32_e32 v11, 31, v1
	v_mov_b32_e32 v10, v1
	;; [unrolled: 2-line block ×4, first 2 shown]
	s_waitcnt vmcnt(1)
	v_ashrrev_i32_e32 v3, 31, v4
	v_mov_b32_e32 v2, v4
	v_ashrrev_i32_e32 v15, 31, v5
	v_mov_b32_e32 v14, v5
	;; [unrolled: 2-line block ×4, first 2 shown]
	v_lshlrev_b64 v[6:7], 3, v[8:9]
	v_lshlrev_b64 v[8:9], 3, v[10:11]
	;; [unrolled: 1-line block ×6, first 2 shown]
	v_add_co_u32 v16, vcc_lo, s18, v6
	v_add_co_ci_u32_e32 v17, vcc_lo, s19, v7, vcc_lo
	v_add_co_u32 v18, vcc_lo, s20, v6
	v_add_co_ci_u32_e32 v19, vcc_lo, s21, v7, vcc_lo
	;; [unrolled: 2-line block ×10, first 2 shown]
	v_lshlrev_b64 v[2:3], 3, v[2:3]
	v_add_co_u32 v36, vcc_lo, s20, v10
	v_add_co_ci_u32_e32 v37, vcc_lo, s21, v11, vcc_lo
	v_add_co_u32 v38, vcc_lo, s22, v10
	v_add_co_ci_u32_e32 v39, vcc_lo, s23, v11, vcc_lo
	;; [unrolled: 2-line block ×6, first 2 shown]
	v_lshlrev_b64 v[4:5], 3, v[4:5]
	v_add_co_u32 v50, vcc_lo, s20, v12
	v_add_co_ci_u32_e32 v51, vcc_lo, s21, v13, vcc_lo
	v_add_co_u32 v52, vcc_lo, s22, v12
	v_add_co_ci_u32_e32 v53, vcc_lo, s23, v13, vcc_lo
	;; [unrolled: 2-line block ×8, first 2 shown]
	global_load_b64 v[0:1], v[16:17], off
	global_load_b64 v[4:5], v[18:19], off
	;; [unrolled: 1-line block ×18, first 2 shown]
	s_clause 0x1
	global_load_b64 v[42:43], v[54:55], off
	global_load_b64 v[44:45], v[60:61], off
	s_clause 0x1
	global_load_b64 v[46:47], v[56:57], off
	global_load_b64 v[48:49], v[62:63], off
	;; [unrolled: 3-line block ×3, first 2 shown]
	s_clause 0x1
	s_load_b64 s[4:5], s[24:25], 0x4
	s_load_b128 s[0:3], s[24:25], 0x10
	s_waitcnt vmcnt(24)
	v_sub_nc_u32_e32 v54, 0, v40
	v_add_nc_u32_e64 v58, 0xf0, 16
	v_add_nc_u32_e64 v59, 0xf0, 48
	v_or_b32_e64 v60, 0xf0, 8
	v_add_nc_u32_e64 v61, 0xf0, 24
	v_max_i32_e32 v56, v40, v54
	v_add_nc_u32_e64 v62, 0xf0, 32
	v_add_nc_u32_e64 v63, 0xf0, 56
	;; [unrolled: 1-line block ×3, first 2 shown]
	s_waitcnt lgkmcnt(0)
	s_abs_i32 s6, s5
	s_delay_alu instid0(SALU_CYCLE_1) | instskip(SKIP_1) | instid1(VALU_DEP_1)
	v_cvt_f32_u32_e32 v38, s6
	s_sub_i32 s7, 0, s6
	v_rcp_iflag_f32_e32 v38, v38
	s_waitcnt_depctr 0xfff
	v_mul_f32_e32 v38, 0x4f7ffffe, v38
	s_delay_alu instid0(VALU_DEP_1) | instskip(NEXT) | instid1(VALU_DEP_1)
	v_cvt_u32_f32_e32 v38, v38
	v_mul_lo_u32 v39, s7, v38
	s_abs_i32 s7, s4
	s_mul_i32 s4, s5, s4
	v_cvt_f32_u32_e32 v54, s7
	s_delay_alu instid0(VALU_DEP_2) | instskip(NEXT) | instid1(VALU_DEP_2)
	v_mul_hi_u32 v39, v38, v39
	v_rcp_iflag_f32_e32 v54, v54
	s_delay_alu instid0(VALU_DEP_1) | instskip(SKIP_3) | instid1(VALU_DEP_2)
	v_add_nc_u32_e32 v38, v38, v39
	s_waitcnt_depctr 0xfff
	v_mul_f32_e32 v54, 0x4f7ffffe, v54
	v_mul_hi_u32 v38, v56, v38
	v_cvt_u32_f32_e32 v54, v54
	s_delay_alu instid0(VALU_DEP_2) | instskip(SKIP_1) | instid1(VALU_DEP_2)
	v_mul_lo_u32 v39, v38, s6
	v_add_nc_u32_e32 v55, 1, v38
	v_sub_nc_u32_e32 v39, v56, v39
	s_delay_alu instid0(VALU_DEP_1) | instskip(SKIP_1) | instid1(VALU_DEP_2)
	v_subrev_nc_u32_e32 v57, s6, v39
	v_cmp_le_u32_e32 vcc_lo, s6, v39
	v_dual_cndmask_b32 v38, v38, v55 :: v_dual_cndmask_b32 v39, v39, v57
	v_xor_b32_e32 v55, s5, v40
	s_delay_alu instid0(VALU_DEP_2) | instskip(NEXT) | instid1(VALU_DEP_3)
	v_add_nc_u32_e32 v57, 1, v38
	v_cmp_le_u32_e32 vcc_lo, s6, v39
	s_delay_alu instid0(VALU_DEP_3) | instskip(SKIP_1) | instid1(SALU_CYCLE_1)
	v_ashrrev_i32_e32 v55, 31, v55
	s_sub_i32 s6, 0, s7
	v_mul_lo_u32 v39, s6, v54
	v_cndmask_b32_e32 v38, v38, v57, vcc_lo
	v_add_nc_u32_e64 v57, 0xf0, 40
	s_delay_alu instid0(VALU_DEP_2) | instskip(NEXT) | instid1(VALU_DEP_4)
	v_xor_b32_e32 v38, v38, v55
	v_mul_hi_u32 v39, v54, v39
	s_delay_alu instid0(VALU_DEP_2) | instskip(NEXT) | instid1(VALU_DEP_1)
	v_sub_nc_u32_e32 v38, v38, v55
	v_sub_nc_u32_e32 v55, 0, v38
	s_delay_alu instid0(VALU_DEP_3) | instskip(NEXT) | instid1(VALU_DEP_2)
	v_add_nc_u32_e32 v39, v54, v39
	v_max_i32_e32 v54, v38, v55
	v_ashrrev_i32_e32 v55, 31, v38
	v_mul_lo_u32 v38, v38, s5
	s_abs_i32 s5, s4
	s_delay_alu instid0(VALU_DEP_3) | instskip(NEXT) | instid1(VALU_DEP_2)
	v_mul_hi_u32 v39, v54, v39
	v_sub_nc_u32_e32 v38, v40, v38
	s_delay_alu instid0(VALU_DEP_2) | instskip(NEXT) | instid1(VALU_DEP_1)
	v_mul_lo_u32 v39, v39, s7
	v_sub_nc_u32_e32 v39, v54, v39
	s_delay_alu instid0(VALU_DEP_1) | instskip(SKIP_1) | instid1(VALU_DEP_2)
	v_subrev_nc_u32_e32 v54, s7, v39
	v_cmp_le_u32_e32 vcc_lo, s7, v39
	v_cndmask_b32_e32 v39, v39, v54, vcc_lo
	s_delay_alu instid0(VALU_DEP_1)
	v_subrev_nc_u32_e32 v54, s7, v39
	v_cmp_le_u32_e32 vcc_lo, s7, v39
	s_load_b64 s[6:7], s[24:25], 0x20
	s_waitcnt vmcnt(20)
	scratch_store_b128 off, v[0:3], off offset:240
	s_waitcnt vmcnt(14)
	s_clause 0x1
	scratch_store_b128 off, v[12:15], off offset:256
	scratch_store_b128 off, v[4:7], off offset:304
	s_waitcnt vmcnt(13)
	s_clause 0x1
	scratch_store_b128 off, v[16:19], off offset:320
	scratch_store_b128 off, v[8:11], off offset:368
	s_waitcnt vmcnt(12)
	scratch_store_b128 off, v[20:23], off offset:384
	s_waitcnt vmcnt(8)
	;; [unrolled: 2-line block ×3, first 2 shown]
	s_clause 0x1
	scratch_store_b128 off, v[42:45], off offset:288
	scratch_store_b128 off, v[30:33], off offset:336
	s_waitcnt vmcnt(2)
	s_clause 0x1
	scratch_store_b128 off, v[46:49], off offset:352
	scratch_store_b128 off, v[34:37], off offset:400
	s_waitcnt vmcnt(0)
	scratch_store_b128 off, v[50:53], off offset:416
	v_cndmask_b32_e32 v39, v39, v54, vcc_lo
	s_delay_alu instid0(VALU_DEP_1) | instskip(NEXT) | instid1(VALU_DEP_1)
	v_xor_b32_e32 v39, v39, v55
	v_sub_nc_u32_e32 v54, v39, v55
	v_ashrrev_i32_e32 v39, 31, v38
	s_delay_alu instid0(VALU_DEP_2) | instskip(NEXT) | instid1(VALU_DEP_2)
	v_ashrrev_i32_e32 v55, 31, v54
	v_lshlrev_b64 v[38:39], 3, v[38:39]
	s_delay_alu instid0(VALU_DEP_2) | instskip(SKIP_1) | instid1(VALU_DEP_2)
	v_lshlrev_b64 v[54:55], 3, v[54:55]
	s_waitcnt lgkmcnt(0)
	v_add_co_u32 v38, vcc_lo, s6, v38
	s_delay_alu instid0(VALU_DEP_3) | instskip(NEXT) | instid1(VALU_DEP_3)
	v_add_co_ci_u32_e32 v39, vcc_lo, s7, v39, vcc_lo
	v_add_co_u32 v54, vcc_lo, s2, v54
	s_delay_alu instid0(VALU_DEP_4)
	v_add_co_ci_u32_e32 v55, vcc_lo, s3, v55, vcc_lo
	flat_load_b128 v[0:3], v[38:39]
	flat_load_b128 v[4:7], v[54:55]
	s_mov_b32 s2, 0x174d6123
	s_mov_b32 s3, 0x2f52f8ac
	v_mov_b32_e32 v38, 8
	s_waitcnt vmcnt(1) lgkmcnt(1)
	v_add_f64 v[10:11], v[2:3], -v[0:1]
	s_waitcnt vmcnt(0) lgkmcnt(0)
	v_add_f64 v[12:13], v[6:7], -v[4:5]
	v_cvt_f32_u32_e32 v6, s5
	s_delay_alu instid0(VALU_DEP_1) | instskip(SKIP_2) | instid1(VALU_DEP_1)
	v_rcp_iflag_f32_e32 v6, v6
	s_waitcnt_depctr 0xfff
	v_mul_f32_e32 v6, 0x4f7ffffe, v6
	v_cvt_u32_f32_e32 v6, v6
	v_mul_f64 v[2:3], v[10:11], v[12:13]
	s_delay_alu instid0(VALU_DEP_1)
	v_fma_f64 v[14:15], v[2:3], v[2:3], s[2:3]
	s_sub_i32 s2, 0, s5
	s_delay_alu instid0(VALU_DEP_3) | instid1(SALU_CYCLE_1)
	v_mul_lo_u32 v7, s2, v6
	s_delay_alu instid0(VALU_DEP_1) | instskip(NEXT) | instid1(VALU_DEP_1)
	v_mul_hi_u32 v7, v6, v7
	v_add_nc_u32_e32 v6, v6, v7
	s_delay_alu instid0(VALU_DEP_1) | instskip(NEXT) | instid1(VALU_DEP_1)
	v_mul_hi_u32 v6, v56, v6
	v_mul_lo_u32 v7, v6, s5
	v_add_nc_u32_e32 v8, 1, v6
	v_div_scale_f64 v[16:17], null, v[14:15], v[14:15], v[2:3]
	s_delay_alu instid0(VALU_DEP_3) | instskip(NEXT) | instid1(VALU_DEP_1)
	v_sub_nc_u32_e32 v7, v56, v7
	v_subrev_nc_u32_e32 v9, s5, v7
	v_cmp_le_u32_e32 vcc_lo, s5, v7
	s_delay_alu instid0(VALU_DEP_2) | instskip(SKIP_1) | instid1(VALU_DEP_2)
	v_dual_cndmask_b32 v6, v6, v8 :: v_dual_cndmask_b32 v7, v7, v9
	v_xor_b32_e32 v8, s4, v40
	v_add_nc_u32_e32 v9, 1, v6
	s_delay_alu instid0(VALU_DEP_3) | instskip(NEXT) | instid1(VALU_DEP_3)
	v_cmp_le_u32_e32 vcc_lo, s5, v7
	v_ashrrev_i32_e32 v8, 31, v8
	s_delay_alu instid0(VALU_DEP_3) | instskip(NEXT) | instid1(VALU_DEP_1)
	v_cndmask_b32_e32 v6, v6, v9, vcc_lo
	v_xor_b32_e32 v6, v6, v8
	s_delay_alu instid0(VALU_DEP_1) | instskip(SKIP_1) | instid1(VALU_DEP_1)
	v_sub_nc_u32_e32 v6, v6, v8
	v_rcp_f64_e32 v[18:19], v[16:17]
	v_ashrrev_i32_e32 v7, 31, v6
	s_delay_alu instid0(VALU_DEP_1) | instskip(NEXT) | instid1(VALU_DEP_1)
	v_lshlrev_b64 v[6:7], 3, v[6:7]
	v_add_co_u32 v6, vcc_lo, s0, v6
	s_delay_alu instid0(VALU_DEP_2) | instskip(SKIP_3) | instid1(VALU_DEP_1)
	v_add_co_ci_u32_e32 v7, vcc_lo, s1, v7, vcc_lo
	v_div_scale_f64 v[22:23], vcc_lo, v[2:3], v[14:15], v[2:3]
	flat_load_b128 v[6:9], v[6:7]
	v_fma_f64 v[20:21], -v[16:17], v[18:19], 1.0
	v_fma_f64 v[18:19], v[18:19], v[20:21], v[18:19]
	s_delay_alu instid0(VALU_DEP_1) | instskip(NEXT) | instid1(VALU_DEP_1)
	v_fma_f64 v[20:21], -v[16:17], v[18:19], 1.0
	v_fma_f64 v[18:19], v[18:19], v[20:21], v[18:19]
	s_delay_alu instid0(VALU_DEP_1) | instskip(NEXT) | instid1(VALU_DEP_1)
	v_mul_f64 v[20:21], v[22:23], v[18:19]
	v_fma_f64 v[16:17], -v[16:17], v[20:21], v[22:23]
	s_delay_alu instid0(VALU_DEP_1) | instskip(NEXT) | instid1(VALU_DEP_1)
	v_div_fmas_f64 v[16:17], v[16:17], v[18:19], v[20:21]
	v_div_fixup_f64 v[14:15], v[16:17], v[14:15], v[2:3]
	s_waitcnt vmcnt(0) lgkmcnt(0)
	v_add_f64 v[16:17], v[8:9], -v[6:7]
	v_cmp_gt_f64_e32 vcc_lo, v[8:9], v[6:7]
	v_mov_b32_e32 v8, 0
	s_clause 0x1
	scratch_store_b32 off, v8, off offset:8
	scratch_store_b32 off, v8, off offset:4
	v_mul_f64 v[32:33], v[12:13], v[14:15]
	v_mul_f64 v[30:31], v[10:11], v[14:15]
	scratch_store_b32 off, v8, off
	v_dual_cndmask_b32 v35, 0, v17 :: v_dual_cndmask_b32 v34, 0, v16
	s_branch .LBB1_6
.LBB1_3:                                ;   in Loop: Header=BB1_6 Depth=1
	s_or_b32 exec_lo, exec_lo, s6
.LBB1_4:                                ;   in Loop: Header=BB1_6 Depth=1
	s_delay_alu instid0(SALU_CYCLE_1)
	s_or_b32 exec_lo, exec_lo, s5
	scratch_load_b32 v9, v8, off
	s_waitcnt vmcnt(0)
	v_lshl_or_b32 v9, 8, s11, v9
	scratch_store_b32 v8, v9, off
.LBB1_5:                                ;   in Loop: Header=BB1_6 Depth=1
	s_or_b32 exec_lo, exec_lo, s16
	s_add_i32 s11, s11, 4
	s_add_u32 s14, s14, 1
	s_addc_u32 s15, s15, 0
	s_delay_alu instid0(SALU_CYCLE_1)
	s_cmp_lg_u64 s[14:15], 6
	s_cbranch_scc0 .LBB1_128
.LBB1_6:                                ; =>This Inner Loop Header: Depth=1
	s_cmp_lt_i32 s14, 2
	s_cbranch_scc1 .LBB1_11
; %bb.7:                                ;   in Loop: Header=BB1_6 Depth=1
	s_cmp_gt_i32 s14, 2
	s_cbranch_scc0 .LBB1_12
; %bb.8:                                ;   in Loop: Header=BB1_6 Depth=1
	s_cmp_gt_i32 s14, 3
	s_cbranch_scc0 .LBB1_13
; %bb.9:                                ;   in Loop: Header=BB1_6 Depth=1
	s_cmp_eq_u32 s14, 4
	s_cbranch_scc0 .LBB1_14
; %bb.10:                               ;   in Loop: Header=BB1_6 Depth=1
	v_mov_b32_e32 v8, 0xf0
	s_mov_b32 s0, 0
	s_mov_b32 s5, 0
	;; [unrolled: 1-line block ×5, first 2 shown]
	s_branch .LBB1_15
.LBB1_11:                               ;   in Loop: Header=BB1_6 Depth=1
	s_mov_b32 s0, 0
                                        ; implicit-def: $sgpr2
                                        ; implicit-def: $vgpr9
                                        ; implicit-def: $sgpr3
                                        ; implicit-def: $vgpr14
                                        ; implicit-def: $sgpr4
                                        ; implicit-def: $vgpr15
                                        ; implicit-def: $sgpr5
                                        ; implicit-def: $vgpr8
	s_cbranch_execnz .LBB1_20
	s_branch .LBB1_25
.LBB1_12:                               ;   in Loop: Header=BB1_6 Depth=1
	s_mov_b32 s0, 0
                                        ; implicit-def: $sgpr2
                                        ; implicit-def: $vgpr9
                                        ; implicit-def: $sgpr3
                                        ; implicit-def: $vgpr14
                                        ; implicit-def: $sgpr4
                                        ; implicit-def: $vgpr15
                                        ; implicit-def: $sgpr5
                                        ; implicit-def: $vgpr8
	s_cbranch_execnz .LBB1_18
	s_branch .LBB1_19
.LBB1_13:                               ;   in Loop: Header=BB1_6 Depth=1
	s_mov_b32 s0, 0
                                        ; implicit-def: $sgpr2
                                        ; implicit-def: $vgpr9
                                        ; implicit-def: $sgpr3
                                        ; implicit-def: $vgpr14
                                        ; implicit-def: $sgpr4
                                        ; implicit-def: $vgpr15
                                        ; implicit-def: $sgpr5
                                        ; implicit-def: $vgpr8
	s_cbranch_execnz .LBB1_16
	s_branch .LBB1_17
.LBB1_14:                               ;   in Loop: Header=BB1_6 Depth=1
	s_mov_b32 s0, -1
                                        ; implicit-def: $sgpr2
                                        ; implicit-def: $sgpr3
                                        ; implicit-def: $sgpr4
                                        ; implicit-def: $sgpr5
                                        ; implicit-def: $vgpr8
.LBB1_15:                               ;   in Loop: Header=BB1_6 Depth=1
	v_dual_mov_b32 v9, v58 :: v_dual_mov_b32 v14, v61
	v_mov_b32_e32 v15, v60
	s_branch .LBB1_17
.LBB1_16:                               ;   in Loop: Header=BB1_6 Depth=1
	s_mov_b32 s5, 2
	v_dual_mov_b32 v9, v59 :: v_dual_mov_b32 v8, v58
	v_dual_mov_b32 v14, v63 :: v_dual_mov_b32 v15, v61
	s_mov_b32 s4, 3
	s_mov_b32 s3, 7
	;; [unrolled: 1-line block ×3, first 2 shown]
.LBB1_17:                               ;   in Loop: Header=BB1_6 Depth=1
	s_branch .LBB1_19
.LBB1_18:                               ;   in Loop: Header=BB1_6 Depth=1
	v_dual_mov_b32 v8, 0xf0 :: v_dual_mov_b32 v9, v60
	v_dual_mov_b32 v14, v57 :: v_dual_mov_b32 v15, v62
	s_mov_b32 s5, 0
	s_mov_b32 s4, 4
	;; [unrolled: 1-line block ×4, first 2 shown]
.LBB1_19:                               ;   in Loop: Header=BB1_6 Depth=1
	s_branch .LBB1_25
.LBB1_20:                               ;   in Loop: Header=BB1_6 Depth=1
	s_cmp_gt_i32 s14, 0
	s_cbranch_scc0 .LBB1_22
; %bb.21:                               ;   in Loop: Header=BB1_6 Depth=1
	s_mov_b32 s1, 0
	s_mov_b32 s5, 1
	;; [unrolled: 1-line block ×5, first 2 shown]
	s_branch .LBB1_23
.LBB1_22:                               ;   in Loop: Header=BB1_6 Depth=1
	s_mov_b32 s1, -1
                                        ; implicit-def: $sgpr2
                                        ; implicit-def: $sgpr3
                                        ; implicit-def: $sgpr4
                                        ; implicit-def: $sgpr5
.LBB1_23:                               ;   in Loop: Header=BB1_6 Depth=1
	v_dual_mov_b32 v9, v61 :: v_dual_mov_b32 v14, v63
	v_dual_mov_b32 v15, v57 :: v_dual_mov_b32 v8, v60
	s_and_not1_b32 vcc_lo, exec_lo, s1
	s_cbranch_vccnz .LBB1_25
; %bb.24:                               ;   in Loop: Header=BB1_6 Depth=1
	v_dual_mov_b32 v8, 0xf0 :: v_dual_mov_b32 v9, v62
	v_dual_mov_b32 v14, v59 :: v_dual_mov_b32 v15, v58
	s_cmp_lg_u32 s14, 0
	s_mov_b32 s4, 2
	s_mov_b32 s3, 6
	;; [unrolled: 1-line block ×3, first 2 shown]
	s_cselect_b32 s0, -1, 0
	s_mov_b32 s5, s14
.LBB1_25:                               ;   in Loop: Header=BB1_6 Depth=1
	s_and_b32 vcc_lo, exec_lo, s0
	s_cbranch_vccz .LBB1_27
; %bb.26:                               ;   in Loop: Header=BB1_6 Depth=1
	v_dual_mov_b32 v8, v62 :: v_dual_mov_b32 v15, v59
	v_dual_mov_b32 v14, v63 :: v_dual_mov_b32 v9, v57
	s_mov_b32 s2, 5
	s_mov_b32 s3, 7
	;; [unrolled: 1-line block ×4, first 2 shown]
.LBB1_27:                               ;   in Loop: Header=BB1_6 Depth=1
	scratch_load_b64 v[16:17], v8, off
	scratch_load_b64 v[18:19], v15, off
	;; [unrolled: 1-line block ×4, first 2 shown]
	s_waitcnt vmcnt(2)
	v_add_f64 v[20:21], v[16:17], v[18:19]
	v_add_f64 v[18:19], v[18:19], -v[0:1]
	s_waitcnt vmcnt(1)
	s_delay_alu instid0(VALU_DEP_2) | instskip(SKIP_1) | instid1(VALU_DEP_1)
	v_add_f64 v[14:15], v[20:21], v[14:15]
	s_waitcnt vmcnt(0)
	v_add_f64 v[8:9], v[14:15], v[8:9]
	v_add_f64 v[14:15], v[16:17], -v[0:1]
	s_delay_alu instid0(VALU_DEP_2) | instskip(NEXT) | instid1(VALU_DEP_2)
	v_fma_f64 v[8:9], 0x3fd00000, v[8:9], -v[0:1]
	v_mul_f64 v[16:17], v[32:33], v[14:15]
	s_delay_alu instid0(VALU_DEP_2) | instskip(SKIP_1) | instid1(VALU_DEP_3)
	v_mul_f64 v[14:15], v[32:33], v[8:9]
	v_mul_f64 v[8:9], v[32:33], v[18:19]
	v_cmp_ngt_f64_e32 vcc_lo, 0, v[16:17]
	s_delay_alu instid0(VALU_DEP_3) | instskip(NEXT) | instid1(VALU_DEP_3)
	v_cmp_ngt_f64_e64 s0, 0, v[14:15]
	v_cmp_ngt_f64_e64 s1, 0, v[8:9]
	s_delay_alu instid0(VALU_DEP_2)
	s_or_b32 s0, vcc_lo, s0
	s_delay_alu instid0(VALU_DEP_1) | instid1(SALU_CYCLE_1)
	s_or_b32 s0, s0, s1
	s_delay_alu instid0(SALU_CYCLE_1)
	s_and_saveexec_b32 s16, s0
	s_cbranch_execz .LBB1_37
; %bb.28:                               ;   in Loop: Header=BB1_6 Depth=1
	v_cmp_nle_f64_e32 vcc_lo, 1.0, v[16:17]
	v_cmp_nle_f64_e64 s0, 1.0, v[14:15]
	v_cmp_nle_f64_e64 s1, 1.0, v[8:9]
	s_delay_alu instid0(VALU_DEP_2)
	s_or_b32 s0, vcc_lo, s0
	s_delay_alu instid0(VALU_DEP_1) | instid1(SALU_CYCLE_1)
	s_or_b32 s0, s0, s1
	s_delay_alu instid0(SALU_CYCLE_1)
	s_and_b32 exec_lo, exec_lo, s0
	s_cbranch_execz .LBB1_37
; %bb.29:                               ;   in Loop: Header=BB1_6 Depth=1
	s_lshl_b32 s0, s5, 3
	s_lshl_b32 s4, s4, 3
	v_add_nc_u32_e64 v18, 0xf0, s0
	s_add_i32 s0, s4, 0xf0
	s_lshl_b32 s3, s3, 3
	s_lshl_b32 s2, s2, 3
	s_delay_alu instid0(VALU_DEP_1)
	v_add_nc_u32_e32 v19, 64, v18
	s_clause 0x1
	scratch_load_b64 v[19:20], v19, off
	scratch_load_b64 v[21:22], off, s0 offset:64
	s_add_i32 s0, s3, 0xf0
	scratch_load_b64 v[23:24], off, s0 offset:64
	s_add_i32 s0, s2, 0xf0
	scratch_load_b64 v[25:26], off, s0 offset:64
	s_waitcnt vmcnt(2)
	v_add_f64 v[36:37], v[19:20], v[21:22]
	v_add_f64 v[19:20], v[19:20], -v[4:5]
	v_add_f64 v[21:22], v[21:22], -v[4:5]
	s_waitcnt vmcnt(1)
	s_delay_alu instid0(VALU_DEP_3) | instskip(NEXT) | instid1(VALU_DEP_3)
	v_add_f64 v[23:24], v[36:37], v[23:24]
	v_mul_f64 v[36:37], v[30:31], v[19:20]
	s_waitcnt vmcnt(0)
	s_delay_alu instid0(VALU_DEP_2) | instskip(NEXT) | instid1(VALU_DEP_2)
	v_add_f64 v[23:24], v[23:24], v[25:26]
	v_cmp_ngt_f64_e32 vcc_lo, 0, v[36:37]
	s_delay_alu instid0(VALU_DEP_2) | instskip(NEXT) | instid1(VALU_DEP_1)
	v_fma_f64 v[23:24], 0x3fd00000, v[23:24], -v[4:5]
	v_mul_f64 v[26:27], v[30:31], v[23:24]
	v_mul_f64 v[24:25], v[30:31], v[21:22]
	s_delay_alu instid0(VALU_DEP_2) | instskip(NEXT) | instid1(VALU_DEP_2)
	v_cmp_ngt_f64_e64 s0, 0, v[26:27]
	v_cmp_ngt_f64_e64 s1, 0, v[24:25]
	s_delay_alu instid0(VALU_DEP_2)
	s_or_b32 s0, vcc_lo, s0
	s_delay_alu instid0(VALU_DEP_1) | instid1(SALU_CYCLE_1)
	s_or_b32 s0, s0, s1
	s_delay_alu instid0(SALU_CYCLE_1)
	s_and_b32 exec_lo, exec_lo, s0
	s_cbranch_execz .LBB1_37
; %bb.30:                               ;   in Loop: Header=BB1_6 Depth=1
	v_cmp_nle_f64_e32 vcc_lo, 1.0, v[36:37]
	v_cmp_nle_f64_e64 s0, 1.0, v[26:27]
	v_cmp_nle_f64_e64 s1, 1.0, v[24:25]
	s_delay_alu instid0(VALU_DEP_2)
	s_or_b32 s0, vcc_lo, s0
	s_delay_alu instid0(VALU_DEP_1) | instid1(SALU_CYCLE_1)
	s_or_b32 s0, s0, s1
	s_delay_alu instid0(SALU_CYCLE_1)
	s_and_b32 exec_lo, exec_lo, s0
	s_cbranch_execz .LBB1_37
; %bb.31:                               ;   in Loop: Header=BB1_6 Depth=1
	v_add_nc_u32_e32 v18, 0x80, v18
	v_add_nc_u32_e64 v20, 0xf0, s4
	v_add_nc_u32_e64 v22, 0xf0, s2
	s_clause 0x1
	scratch_load_b64 v[18:19], v18, off
	scratch_load_b64 v[39:40], v20, off offset:128
	v_add_nc_u32_e64 v20, 0xf0, s3
	s_clause 0x1
	scratch_load_b64 v[22:23], v22, off offset:128
	scratch_load_b64 v[20:21], v20, off offset:128
	s_waitcnt vmcnt(2)
	v_add_f64 v[42:43], v[18:19], v[39:40]
	s_waitcnt vmcnt(0)
	s_delay_alu instid0(VALU_DEP_1) | instskip(NEXT) | instid1(VALU_DEP_1)
	v_add_f64 v[20:21], v[42:43], v[20:21]
	v_add_f64 v[20:21], v[20:21], v[22:23]
	v_add_f64 v[22:23], v[18:19], -v[6:7]
	v_add_f64 v[18:19], v[39:40], -v[6:7]
	s_delay_alu instid0(VALU_DEP_3) | instskip(NEXT) | instid1(VALU_DEP_3)
	v_fma_f64 v[20:21], 0x3fd00000, v[20:21], -v[6:7]
	v_cmp_ngt_f64_e32 vcc_lo, 0, v[22:23]
	s_delay_alu instid0(VALU_DEP_3) | instskip(NEXT) | instid1(VALU_DEP_3)
	v_cmp_ngt_f64_e64 s1, 0, v[18:19]
	v_cmp_ngt_f64_e64 s0, 0, v[20:21]
	s_delay_alu instid0(VALU_DEP_1)
	s_or_b32 s0, vcc_lo, s0
	s_delay_alu instid0(VALU_DEP_2) | instid1(SALU_CYCLE_1)
	s_or_b32 s0, s0, s1
	s_delay_alu instid0(SALU_CYCLE_1)
	s_and_b32 exec_lo, exec_lo, s0
	s_cbranch_execz .LBB1_37
; %bb.32:                               ;   in Loop: Header=BB1_6 Depth=1
	v_cmp_le_f64_e32 vcc_lo, 0, v[16:17]
	v_cmp_le_f64_e64 s0, 0, v[14:15]
	v_cmp_le_f64_e64 s1, 0, v[8:9]
	v_cmp_gt_f64_e64 s2, 1.0, v[16:17]
	v_cmp_gt_f64_e64 s3, 1.0, v[14:15]
	;; [unrolled: 1-line block ×3, first 2 shown]
	v_cmp_le_f64_e64 s5, 0, v[36:37]
	v_cmp_le_f64_e64 s6, 0, v[26:27]
	;; [unrolled: 1-line block ×3, first 2 shown]
	v_cmp_gt_f64_e64 s8, 1.0, v[36:37]
	v_cmp_gt_f64_e64 s9, 1.0, v[26:27]
	;; [unrolled: 1-line block ×3, first 2 shown]
	v_mov_b32_e32 v8, 8
	s_and_b32 s0, vcc_lo, s0
	s_delay_alu instid0(SALU_CYCLE_1) | instskip(NEXT) | instid1(SALU_CYCLE_1)
	s_and_b32 s0, s0, s1
	s_and_b32 s0, s2, s0
	s_delay_alu instid0(SALU_CYCLE_1) | instskip(NEXT) | instid1(SALU_CYCLE_1)
	s_and_b32 s0, s0, s3
	s_and_b32 s0, s0, s4
	;; [unrolled: 3-line block ×3, first 2 shown]
	s_delay_alu instid0(SALU_CYCLE_1)
	s_and_b32 s0, s0, s7
	s_delay_alu instid0(VALU_DEP_4) | instid1(SALU_CYCLE_1)
	s_and_b32 s0, s8, s0
	s_delay_alu instid0(VALU_DEP_3) | instid1(SALU_CYCLE_1)
	s_and_b32 s0, s0, s9
	s_delay_alu instid0(VALU_DEP_2) | instid1(SALU_CYCLE_1)
	s_and_b32 s0, s0, s10
	s_delay_alu instid0(SALU_CYCLE_1)
	s_and_saveexec_b32 s5, s0
	s_cbranch_execz .LBB1_36
; %bb.33:                               ;   in Loop: Header=BB1_6 Depth=1
	v_cmp_nge_f64_e32 vcc_lo, v[22:23], v[34:35]
	v_cmp_nge_f64_e64 s0, v[20:21], v[34:35]
	v_cmp_nge_f64_e64 s1, v[18:19], v[34:35]
	v_mov_b32_e32 v8, 4
	s_delay_alu instid0(VALU_DEP_3)
	s_or_b32 s0, vcc_lo, s0
	s_delay_alu instid0(VALU_DEP_2) | instid1(SALU_CYCLE_1)
	s_or_b32 s0, s0, s1
	s_delay_alu instid0(SALU_CYCLE_1)
	s_and_saveexec_b32 s6, s0
	s_cbranch_execz .LBB1_35
; %bb.34:                               ;   in Loop: Header=BB1_6 Depth=1
	v_cmp_le_f64_e32 vcc_lo, 0, v[22:23]
	v_cmp_le_f64_e64 s0, 0, v[20:21]
	v_cmp_le_f64_e64 s1, 0, v[18:19]
	v_cmp_lt_f64_e64 s2, v[22:23], v[34:35]
	v_cmp_lt_f64_e64 s3, v[20:21], v[34:35]
	;; [unrolled: 1-line block ×3, first 2 shown]
	s_and_b32 s0, vcc_lo, s0
	s_delay_alu instid0(VALU_DEP_4) | instid1(SALU_CYCLE_1)
	s_and_b32 s0, s0, s1
	s_delay_alu instid0(VALU_DEP_3) | instid1(SALU_CYCLE_1)
	s_and_b32 s0, s2, s0
	s_delay_alu instid0(VALU_DEP_2) | instid1(SALU_CYCLE_1)
	s_and_b32 s0, s0, s3
	s_delay_alu instid0(VALU_DEP_1) | instid1(SALU_CYCLE_1)
	s_and_b32 s0, s0, s4
	s_delay_alu instid0(SALU_CYCLE_1)
	v_cndmask_b32_e64 v8, v38, 0, s0
.LBB1_35:                               ;   in Loop: Header=BB1_6 Depth=1
	s_or_b32 exec_lo, exec_lo, s6
.LBB1_36:                               ;   in Loop: Header=BB1_6 Depth=1
	s_delay_alu instid0(SALU_CYCLE_1)
	s_or_b32 exec_lo, exec_lo, s5
	scratch_load_b32 v9, v8, off
	s_waitcnt vmcnt(0)
	v_lshl_or_b32 v9, 1, s11, v9
	scratch_store_b32 v8, v9, off
.LBB1_37:                               ;   in Loop: Header=BB1_6 Depth=1
	s_or_b32 exec_lo, exec_lo, s16
	s_cmp_lt_i32 s14, 2
	s_cbranch_scc1 .LBB1_42
; %bb.38:                               ;   in Loop: Header=BB1_6 Depth=1
	s_cmp_gt_i32 s14, 2
	s_cbranch_scc0 .LBB1_43
; %bb.39:                               ;   in Loop: Header=BB1_6 Depth=1
	s_cmp_gt_i32 s14, 3
	s_cbranch_scc0 .LBB1_44
; %bb.40:                               ;   in Loop: Header=BB1_6 Depth=1
	s_cmp_eq_u32 s14, 4
	s_cbranch_scc0 .LBB1_45
; %bb.41:                               ;   in Loop: Header=BB1_6 Depth=1
	v_mov_b32_e32 v8, 0xf0
	s_mov_b32 s0, 0
	s_mov_b32 s5, 0
	;; [unrolled: 1-line block ×5, first 2 shown]
	s_branch .LBB1_46
.LBB1_42:                               ;   in Loop: Header=BB1_6 Depth=1
	s_mov_b32 s0, 0
                                        ; implicit-def: $sgpr2
                                        ; implicit-def: $vgpr9
                                        ; implicit-def: $sgpr3
                                        ; implicit-def: $vgpr14
                                        ; implicit-def: $sgpr4
                                        ; implicit-def: $vgpr15
                                        ; implicit-def: $sgpr5
                                        ; implicit-def: $vgpr8
	s_cbranch_execnz .LBB1_51
	s_branch .LBB1_56
.LBB1_43:                               ;   in Loop: Header=BB1_6 Depth=1
	s_mov_b32 s0, 0
                                        ; implicit-def: $sgpr2
                                        ; implicit-def: $vgpr9
                                        ; implicit-def: $sgpr3
                                        ; implicit-def: $vgpr14
                                        ; implicit-def: $sgpr4
                                        ; implicit-def: $vgpr15
                                        ; implicit-def: $sgpr5
                                        ; implicit-def: $vgpr8
	s_cbranch_execnz .LBB1_49
	s_branch .LBB1_50
.LBB1_44:                               ;   in Loop: Header=BB1_6 Depth=1
	s_mov_b32 s0, 0
                                        ; implicit-def: $sgpr2
                                        ; implicit-def: $vgpr9
                                        ; implicit-def: $sgpr3
                                        ; implicit-def: $vgpr14
                                        ; implicit-def: $sgpr4
                                        ; implicit-def: $vgpr15
                                        ; implicit-def: $sgpr5
                                        ; implicit-def: $vgpr8
	s_cbranch_execnz .LBB1_47
	s_branch .LBB1_48
.LBB1_45:                               ;   in Loop: Header=BB1_6 Depth=1
	s_mov_b32 s0, -1
                                        ; implicit-def: $sgpr2
                                        ; implicit-def: $sgpr3
                                        ; implicit-def: $sgpr4
                                        ; implicit-def: $sgpr5
                                        ; implicit-def: $vgpr8
.LBB1_46:                               ;   in Loop: Header=BB1_6 Depth=1
	v_dual_mov_b32 v9, v58 :: v_dual_mov_b32 v14, v61
	v_mov_b32_e32 v15, v60
	s_branch .LBB1_48
.LBB1_47:                               ;   in Loop: Header=BB1_6 Depth=1
	v_dual_mov_b32 v9, v59 :: v_dual_mov_b32 v8, v58
	v_dual_mov_b32 v14, v63 :: v_dual_mov_b32 v15, v61
	s_mov_b32 s5, 2
	s_mov_b32 s4, 3
	s_mov_b32 s3, 7
	s_mov_b32 s2, 6
.LBB1_48:                               ;   in Loop: Header=BB1_6 Depth=1
	s_branch .LBB1_50
.LBB1_49:                               ;   in Loop: Header=BB1_6 Depth=1
	v_dual_mov_b32 v8, 0xf0 :: v_dual_mov_b32 v9, v60
	v_dual_mov_b32 v14, v57 :: v_dual_mov_b32 v15, v62
	s_mov_b32 s5, 0
	s_mov_b32 s4, 4
	;; [unrolled: 1-line block ×4, first 2 shown]
.LBB1_50:                               ;   in Loop: Header=BB1_6 Depth=1
	s_branch .LBB1_56
.LBB1_51:                               ;   in Loop: Header=BB1_6 Depth=1
	s_cmp_gt_i32 s14, 0
	s_cbranch_scc0 .LBB1_53
; %bb.52:                               ;   in Loop: Header=BB1_6 Depth=1
	s_mov_b32 s1, 0
	s_mov_b32 s5, 1
	;; [unrolled: 1-line block ×5, first 2 shown]
	s_branch .LBB1_54
.LBB1_53:                               ;   in Loop: Header=BB1_6 Depth=1
	s_mov_b32 s1, -1
                                        ; implicit-def: $sgpr2
                                        ; implicit-def: $sgpr3
                                        ; implicit-def: $sgpr4
                                        ; implicit-def: $sgpr5
.LBB1_54:                               ;   in Loop: Header=BB1_6 Depth=1
	v_dual_mov_b32 v9, v61 :: v_dual_mov_b32 v14, v63
	v_dual_mov_b32 v15, v57 :: v_dual_mov_b32 v8, v60
	s_and_not1_b32 vcc_lo, exec_lo, s1
	s_cbranch_vccnz .LBB1_56
; %bb.55:                               ;   in Loop: Header=BB1_6 Depth=1
	v_dual_mov_b32 v8, 0xf0 :: v_dual_mov_b32 v9, v62
	v_dual_mov_b32 v14, v59 :: v_dual_mov_b32 v15, v58
	s_cmp_lg_u32 s14, 0
	s_mov_b32 s4, 2
	s_mov_b32 s3, 6
	;; [unrolled: 1-line block ×3, first 2 shown]
	s_cselect_b32 s0, -1, 0
	s_mov_b32 s5, s14
.LBB1_56:                               ;   in Loop: Header=BB1_6 Depth=1
	s_and_b32 vcc_lo, exec_lo, s0
	s_cbranch_vccz .LBB1_58
; %bb.57:                               ;   in Loop: Header=BB1_6 Depth=1
	v_dual_mov_b32 v8, v62 :: v_dual_mov_b32 v15, v59
	v_dual_mov_b32 v14, v63 :: v_dual_mov_b32 v9, v57
	s_mov_b32 s2, 5
	s_mov_b32 s3, 7
	;; [unrolled: 1-line block ×4, first 2 shown]
.LBB1_58:                               ;   in Loop: Header=BB1_6 Depth=1
	scratch_load_b64 v[16:17], v8, off
	scratch_load_b64 v[18:19], v15, off
	;; [unrolled: 1-line block ×4, first 2 shown]
	s_waitcnt vmcnt(2)
	v_add_f64 v[16:17], v[16:17], v[18:19]
	s_waitcnt vmcnt(1)
	s_delay_alu instid0(VALU_DEP_1) | instskip(SKIP_1) | instid1(VALU_DEP_1)
	v_add_f64 v[16:17], v[16:17], v[14:15]
	s_waitcnt vmcnt(0)
	v_add_f64 v[8:9], v[16:17], v[8:9]
	v_add_f64 v[16:17], v[18:19], -v[0:1]
	v_add_f64 v[18:19], v[14:15], -v[0:1]
	s_delay_alu instid0(VALU_DEP_3) | instskip(NEXT) | instid1(VALU_DEP_3)
	v_fma_f64 v[8:9], 0x3fd00000, v[8:9], -v[0:1]
	v_mul_f64 v[16:17], v[32:33], v[16:17]
	s_delay_alu instid0(VALU_DEP_2) | instskip(NEXT) | instid1(VALU_DEP_4)
	v_mul_f64 v[14:15], v[32:33], v[8:9]
	v_mul_f64 v[8:9], v[32:33], v[18:19]
	s_delay_alu instid0(VALU_DEP_3) | instskip(NEXT) | instid1(VALU_DEP_3)
	v_cmp_ngt_f64_e32 vcc_lo, 0, v[16:17]
	v_cmp_ngt_f64_e64 s0, 0, v[14:15]
	s_delay_alu instid0(VALU_DEP_3) | instskip(NEXT) | instid1(VALU_DEP_2)
	v_cmp_ngt_f64_e64 s1, 0, v[8:9]
	s_or_b32 s0, vcc_lo, s0
	s_delay_alu instid0(VALU_DEP_1) | instid1(SALU_CYCLE_1)
	s_or_b32 s0, s0, s1
	s_delay_alu instid0(SALU_CYCLE_1)
	s_and_saveexec_b32 s16, s0
	s_cbranch_execz .LBB1_68
; %bb.59:                               ;   in Loop: Header=BB1_6 Depth=1
	v_cmp_nle_f64_e32 vcc_lo, 1.0, v[16:17]
	v_cmp_nle_f64_e64 s0, 1.0, v[14:15]
	v_cmp_nle_f64_e64 s1, 1.0, v[8:9]
	s_delay_alu instid0(VALU_DEP_2)
	s_or_b32 s0, vcc_lo, s0
	s_delay_alu instid0(VALU_DEP_1) | instid1(SALU_CYCLE_1)
	s_or_b32 s0, s0, s1
	s_delay_alu instid0(SALU_CYCLE_1)
	s_and_b32 exec_lo, exec_lo, s0
	s_cbranch_execz .LBB1_68
; %bb.60:                               ;   in Loop: Header=BB1_6 Depth=1
	s_lshl_b32 s0, s5, 3
	s_lshl_b32 s4, s4, 3
	v_add_nc_u32_e64 v18, 0xf0, s0
	s_add_i32 s0, s4, 0xf0
	s_lshl_b32 s3, s3, 3
	s_lshl_b32 s2, s2, 3
	s_delay_alu instid0(VALU_DEP_1)
	v_add_nc_u32_e32 v19, 64, v18
	s_clause 0x1
	scratch_load_b64 v[19:20], v19, off
	scratch_load_b64 v[21:22], off, s0 offset:64
	s_add_i32 s0, s3, 0xf0
	scratch_load_b64 v[23:24], off, s0 offset:64
	s_add_i32 s0, s2, 0xf0
	scratch_load_b64 v[25:26], off, s0 offset:64
	s_waitcnt vmcnt(2)
	v_add_f64 v[19:20], v[19:20], v[21:22]
	v_add_f64 v[21:22], v[21:22], -v[4:5]
	s_waitcnt vmcnt(1)
	s_delay_alu instid0(VALU_DEP_2) | instskip(SKIP_1) | instid1(VALU_DEP_3)
	v_add_f64 v[19:20], v[19:20], v[23:24]
	v_add_f64 v[23:24], v[23:24], -v[4:5]
	v_mul_f64 v[36:37], v[30:31], v[21:22]
	s_waitcnt vmcnt(0)
	s_delay_alu instid0(VALU_DEP_3) | instskip(NEXT) | instid1(VALU_DEP_3)
	v_add_f64 v[19:20], v[19:20], v[25:26]
	v_mul_f64 v[24:25], v[30:31], v[23:24]
	s_delay_alu instid0(VALU_DEP_3) | instskip(NEXT) | instid1(VALU_DEP_3)
	v_cmp_ngt_f64_e32 vcc_lo, 0, v[36:37]
	v_fma_f64 v[19:20], 0x3fd00000, v[19:20], -v[4:5]
	s_delay_alu instid0(VALU_DEP_3) | instskip(NEXT) | instid1(VALU_DEP_2)
	v_cmp_ngt_f64_e64 s1, 0, v[24:25]
	v_mul_f64 v[26:27], v[30:31], v[19:20]
	s_delay_alu instid0(VALU_DEP_1) | instskip(NEXT) | instid1(VALU_DEP_1)
	v_cmp_ngt_f64_e64 s0, 0, v[26:27]
	s_or_b32 s0, vcc_lo, s0
	s_delay_alu instid0(VALU_DEP_3) | instid1(SALU_CYCLE_1)
	s_or_b32 s0, s0, s1
	s_delay_alu instid0(SALU_CYCLE_1)
	s_and_b32 exec_lo, exec_lo, s0
	s_cbranch_execz .LBB1_68
; %bb.61:                               ;   in Loop: Header=BB1_6 Depth=1
	v_cmp_nle_f64_e32 vcc_lo, 1.0, v[36:37]
	v_cmp_nle_f64_e64 s0, 1.0, v[26:27]
	v_cmp_nle_f64_e64 s1, 1.0, v[24:25]
	s_delay_alu instid0(VALU_DEP_2)
	s_or_b32 s0, vcc_lo, s0
	s_delay_alu instid0(VALU_DEP_1) | instid1(SALU_CYCLE_1)
	s_or_b32 s0, s0, s1
	s_delay_alu instid0(SALU_CYCLE_1)
	s_and_b32 exec_lo, exec_lo, s0
	s_cbranch_execz .LBB1_68
; %bb.62:                               ;   in Loop: Header=BB1_6 Depth=1
	v_add_nc_u32_e32 v18, 0x80, v18
	v_add_nc_u32_e64 v20, 0xf0, s4
	v_add_nc_u32_e64 v22, 0xf0, s3
	s_clause 0x2
	scratch_load_b64 v[18:19], v18, off
	scratch_load_b64 v[20:21], v20, off offset:128
	scratch_load_b64 v[39:40], v22, off offset:128
	v_add_nc_u32_e64 v22, 0xf0, s2
	scratch_load_b64 v[22:23], v22, off offset:128
	s_waitcnt vmcnt(2)
	v_add_f64 v[18:19], v[18:19], v[20:21]
	s_waitcnt vmcnt(1)
	s_delay_alu instid0(VALU_DEP_1) | instskip(SKIP_1) | instid1(VALU_DEP_1)
	v_add_f64 v[18:19], v[18:19], v[39:40]
	s_waitcnt vmcnt(0)
	v_add_f64 v[18:19], v[18:19], v[22:23]
	v_add_f64 v[22:23], v[20:21], -v[6:7]
	s_delay_alu instid0(VALU_DEP_2) | instskip(SKIP_1) | instid1(VALU_DEP_3)
	v_fma_f64 v[20:21], 0x3fd00000, v[18:19], -v[6:7]
	v_add_f64 v[18:19], v[39:40], -v[6:7]
	v_cmp_ngt_f64_e32 vcc_lo, 0, v[22:23]
	s_delay_alu instid0(VALU_DEP_3) | instskip(NEXT) | instid1(VALU_DEP_3)
	v_cmp_ngt_f64_e64 s0, 0, v[20:21]
	v_cmp_ngt_f64_e64 s1, 0, v[18:19]
	s_delay_alu instid0(VALU_DEP_2)
	s_or_b32 s0, vcc_lo, s0
	s_delay_alu instid0(VALU_DEP_1) | instid1(SALU_CYCLE_1)
	s_or_b32 s0, s0, s1
	s_delay_alu instid0(SALU_CYCLE_1)
	s_and_b32 exec_lo, exec_lo, s0
	s_cbranch_execz .LBB1_68
; %bb.63:                               ;   in Loop: Header=BB1_6 Depth=1
	v_cmp_le_f64_e32 vcc_lo, 0, v[16:17]
	v_cmp_le_f64_e64 s0, 0, v[14:15]
	v_cmp_le_f64_e64 s1, 0, v[8:9]
	v_cmp_gt_f64_e64 s2, 1.0, v[16:17]
	v_cmp_gt_f64_e64 s3, 1.0, v[14:15]
	;; [unrolled: 1-line block ×3, first 2 shown]
	v_cmp_le_f64_e64 s5, 0, v[36:37]
	v_cmp_le_f64_e64 s6, 0, v[26:27]
	;; [unrolled: 1-line block ×3, first 2 shown]
	v_cmp_gt_f64_e64 s8, 1.0, v[36:37]
	v_cmp_gt_f64_e64 s9, 1.0, v[26:27]
	;; [unrolled: 1-line block ×3, first 2 shown]
	v_mov_b32_e32 v8, 8
	s_and_b32 s0, vcc_lo, s0
	s_delay_alu instid0(SALU_CYCLE_1) | instskip(NEXT) | instid1(SALU_CYCLE_1)
	s_and_b32 s0, s0, s1
	s_and_b32 s0, s2, s0
	s_delay_alu instid0(SALU_CYCLE_1) | instskip(NEXT) | instid1(SALU_CYCLE_1)
	s_and_b32 s0, s0, s3
	s_and_b32 s0, s0, s4
	;; [unrolled: 3-line block ×3, first 2 shown]
	s_delay_alu instid0(SALU_CYCLE_1)
	s_and_b32 s0, s0, s7
	s_delay_alu instid0(VALU_DEP_4) | instid1(SALU_CYCLE_1)
	s_and_b32 s0, s8, s0
	s_delay_alu instid0(VALU_DEP_3) | instid1(SALU_CYCLE_1)
	s_and_b32 s0, s0, s9
	s_delay_alu instid0(VALU_DEP_2) | instid1(SALU_CYCLE_1)
	s_and_b32 s0, s0, s10
	s_delay_alu instid0(SALU_CYCLE_1)
	s_and_saveexec_b32 s5, s0
	s_cbranch_execz .LBB1_67
; %bb.64:                               ;   in Loop: Header=BB1_6 Depth=1
	v_cmp_nge_f64_e32 vcc_lo, v[22:23], v[34:35]
	v_cmp_nge_f64_e64 s0, v[20:21], v[34:35]
	v_cmp_nge_f64_e64 s1, v[18:19], v[34:35]
	v_mov_b32_e32 v8, 4
	s_delay_alu instid0(VALU_DEP_3)
	s_or_b32 s0, vcc_lo, s0
	s_delay_alu instid0(VALU_DEP_2) | instid1(SALU_CYCLE_1)
	s_or_b32 s0, s0, s1
	s_delay_alu instid0(SALU_CYCLE_1)
	s_and_saveexec_b32 s6, s0
	s_cbranch_execz .LBB1_66
; %bb.65:                               ;   in Loop: Header=BB1_6 Depth=1
	v_cmp_le_f64_e32 vcc_lo, 0, v[22:23]
	v_cmp_le_f64_e64 s0, 0, v[20:21]
	v_cmp_le_f64_e64 s1, 0, v[18:19]
	v_cmp_lt_f64_e64 s2, v[22:23], v[34:35]
	v_cmp_lt_f64_e64 s3, v[20:21], v[34:35]
	v_cmp_lt_f64_e64 s4, v[18:19], v[34:35]
	s_and_b32 s0, vcc_lo, s0
	s_delay_alu instid0(VALU_DEP_4) | instid1(SALU_CYCLE_1)
	s_and_b32 s0, s0, s1
	s_delay_alu instid0(VALU_DEP_3) | instid1(SALU_CYCLE_1)
	s_and_b32 s0, s2, s0
	s_delay_alu instid0(VALU_DEP_2) | instid1(SALU_CYCLE_1)
	s_and_b32 s0, s0, s3
	s_delay_alu instid0(VALU_DEP_1) | instid1(SALU_CYCLE_1)
	s_and_b32 s0, s0, s4
	s_delay_alu instid0(SALU_CYCLE_1)
	v_cndmask_b32_e64 v8, v38, 0, s0
.LBB1_66:                               ;   in Loop: Header=BB1_6 Depth=1
	s_or_b32 exec_lo, exec_lo, s6
.LBB1_67:                               ;   in Loop: Header=BB1_6 Depth=1
	s_delay_alu instid0(SALU_CYCLE_1)
	s_or_b32 exec_lo, exec_lo, s5
	scratch_load_b32 v9, v8, off
	s_waitcnt vmcnt(0)
	v_lshl_or_b32 v9, 2, s11, v9
	scratch_store_b32 v8, v9, off
.LBB1_68:                               ;   in Loop: Header=BB1_6 Depth=1
	s_or_b32 exec_lo, exec_lo, s16
	s_cmp_lt_i32 s14, 2
	s_cbranch_scc1 .LBB1_73
; %bb.69:                               ;   in Loop: Header=BB1_6 Depth=1
	s_cmp_gt_i32 s14, 2
	s_cbranch_scc0 .LBB1_74
; %bb.70:                               ;   in Loop: Header=BB1_6 Depth=1
	s_cmp_gt_i32 s14, 3
	s_cbranch_scc0 .LBB1_75
; %bb.71:                               ;   in Loop: Header=BB1_6 Depth=1
	s_cmp_eq_u32 s14, 4
	s_cbranch_scc0 .LBB1_76
; %bb.72:                               ;   in Loop: Header=BB1_6 Depth=1
	v_mov_b32_e32 v8, 0xf0
	s_mov_b32 s0, 0
	s_mov_b32 s5, 0
	;; [unrolled: 1-line block ×5, first 2 shown]
	s_branch .LBB1_77
.LBB1_73:                               ;   in Loop: Header=BB1_6 Depth=1
	s_mov_b32 s0, 0
                                        ; implicit-def: $sgpr2
                                        ; implicit-def: $vgpr9
                                        ; implicit-def: $sgpr3
                                        ; implicit-def: $vgpr14
                                        ; implicit-def: $sgpr4
                                        ; implicit-def: $vgpr15
                                        ; implicit-def: $sgpr5
                                        ; implicit-def: $vgpr8
	s_cbranch_execnz .LBB1_82
	s_branch .LBB1_87
.LBB1_74:                               ;   in Loop: Header=BB1_6 Depth=1
	s_mov_b32 s0, 0
                                        ; implicit-def: $sgpr2
                                        ; implicit-def: $vgpr9
                                        ; implicit-def: $sgpr3
                                        ; implicit-def: $vgpr14
                                        ; implicit-def: $sgpr4
                                        ; implicit-def: $vgpr15
                                        ; implicit-def: $sgpr5
                                        ; implicit-def: $vgpr8
	s_cbranch_execnz .LBB1_80
	s_branch .LBB1_81
.LBB1_75:                               ;   in Loop: Header=BB1_6 Depth=1
	s_mov_b32 s0, 0
                                        ; implicit-def: $sgpr2
                                        ; implicit-def: $vgpr9
                                        ; implicit-def: $sgpr3
                                        ; implicit-def: $vgpr14
                                        ; implicit-def: $sgpr4
                                        ; implicit-def: $vgpr15
                                        ; implicit-def: $sgpr5
                                        ; implicit-def: $vgpr8
	s_cbranch_execnz .LBB1_78
	s_branch .LBB1_79
.LBB1_76:                               ;   in Loop: Header=BB1_6 Depth=1
	s_mov_b32 s0, -1
                                        ; implicit-def: $sgpr2
                                        ; implicit-def: $sgpr3
                                        ; implicit-def: $sgpr4
                                        ; implicit-def: $sgpr5
                                        ; implicit-def: $vgpr8
.LBB1_77:                               ;   in Loop: Header=BB1_6 Depth=1
	v_dual_mov_b32 v9, v58 :: v_dual_mov_b32 v14, v61
	v_mov_b32_e32 v15, v60
	s_branch .LBB1_79
.LBB1_78:                               ;   in Loop: Header=BB1_6 Depth=1
	v_dual_mov_b32 v9, v59 :: v_dual_mov_b32 v8, v58
	v_dual_mov_b32 v14, v63 :: v_dual_mov_b32 v15, v61
	s_mov_b32 s5, 2
	s_mov_b32 s4, 3
	;; [unrolled: 1-line block ×4, first 2 shown]
.LBB1_79:                               ;   in Loop: Header=BB1_6 Depth=1
	s_branch .LBB1_81
.LBB1_80:                               ;   in Loop: Header=BB1_6 Depth=1
	v_dual_mov_b32 v8, 0xf0 :: v_dual_mov_b32 v9, v60
	v_dual_mov_b32 v14, v57 :: v_dual_mov_b32 v15, v62
	s_mov_b32 s5, 0
	s_mov_b32 s4, 4
	;; [unrolled: 1-line block ×4, first 2 shown]
.LBB1_81:                               ;   in Loop: Header=BB1_6 Depth=1
	s_branch .LBB1_87
.LBB1_82:                               ;   in Loop: Header=BB1_6 Depth=1
	s_cmp_gt_i32 s14, 0
	s_cbranch_scc0 .LBB1_84
; %bb.83:                               ;   in Loop: Header=BB1_6 Depth=1
	s_mov_b32 s1, 0
	s_mov_b32 s5, 1
	;; [unrolled: 1-line block ×5, first 2 shown]
	s_branch .LBB1_85
.LBB1_84:                               ;   in Loop: Header=BB1_6 Depth=1
	s_mov_b32 s1, -1
                                        ; implicit-def: $sgpr2
                                        ; implicit-def: $sgpr3
                                        ; implicit-def: $sgpr4
                                        ; implicit-def: $sgpr5
.LBB1_85:                               ;   in Loop: Header=BB1_6 Depth=1
	v_dual_mov_b32 v9, v61 :: v_dual_mov_b32 v14, v63
	v_dual_mov_b32 v15, v57 :: v_dual_mov_b32 v8, v60
	s_and_not1_b32 vcc_lo, exec_lo, s1
	s_cbranch_vccnz .LBB1_87
; %bb.86:                               ;   in Loop: Header=BB1_6 Depth=1
	v_dual_mov_b32 v8, 0xf0 :: v_dual_mov_b32 v9, v62
	v_dual_mov_b32 v14, v59 :: v_dual_mov_b32 v15, v58
	s_cmp_lg_u32 s14, 0
	s_mov_b32 s4, 2
	s_mov_b32 s3, 6
	;; [unrolled: 1-line block ×3, first 2 shown]
	s_cselect_b32 s0, -1, 0
	s_mov_b32 s5, s14
.LBB1_87:                               ;   in Loop: Header=BB1_6 Depth=1
	s_and_b32 vcc_lo, exec_lo, s0
	s_cbranch_vccz .LBB1_89
; %bb.88:                               ;   in Loop: Header=BB1_6 Depth=1
	v_dual_mov_b32 v8, v62 :: v_dual_mov_b32 v15, v59
	v_dual_mov_b32 v14, v63 :: v_dual_mov_b32 v9, v57
	s_mov_b32 s2, 5
	s_mov_b32 s3, 7
	;; [unrolled: 1-line block ×4, first 2 shown]
.LBB1_89:                               ;   in Loop: Header=BB1_6 Depth=1
	scratch_load_b64 v[16:17], v8, off
	scratch_load_b64 v[18:19], v15, off
	;; [unrolled: 1-line block ×4, first 2 shown]
	s_waitcnt vmcnt(2)
	v_add_f64 v[16:17], v[16:17], v[18:19]
	s_waitcnt vmcnt(1)
	s_delay_alu instid0(VALU_DEP_1) | instskip(SKIP_2) | instid1(VALU_DEP_2)
	v_add_f64 v[16:17], v[16:17], v[14:15]
	v_add_f64 v[14:15], v[14:15], -v[0:1]
	s_waitcnt vmcnt(0)
	v_add_f64 v[16:17], v[16:17], v[8:9]
	v_add_f64 v[8:9], v[8:9], -v[0:1]
	s_delay_alu instid0(VALU_DEP_2) | instskip(NEXT) | instid1(VALU_DEP_4)
	v_fma_f64 v[18:19], 0x3fd00000, v[16:17], -v[0:1]
	v_mul_f64 v[16:17], v[32:33], v[14:15]
	s_delay_alu instid0(VALU_DEP_3) | instskip(NEXT) | instid1(VALU_DEP_3)
	v_mul_f64 v[8:9], v[32:33], v[8:9]
	v_mul_f64 v[14:15], v[32:33], v[18:19]
	s_delay_alu instid0(VALU_DEP_3) | instskip(NEXT) | instid1(VALU_DEP_3)
	v_cmp_ngt_f64_e32 vcc_lo, 0, v[16:17]
	v_cmp_ngt_f64_e64 s1, 0, v[8:9]
	s_delay_alu instid0(VALU_DEP_3) | instskip(NEXT) | instid1(VALU_DEP_1)
	v_cmp_ngt_f64_e64 s0, 0, v[14:15]
	s_or_b32 s0, vcc_lo, s0
	s_delay_alu instid0(VALU_DEP_2) | instid1(SALU_CYCLE_1)
	s_or_b32 s0, s0, s1
	s_delay_alu instid0(SALU_CYCLE_1)
	s_and_saveexec_b32 s16, s0
	s_cbranch_execz .LBB1_99
; %bb.90:                               ;   in Loop: Header=BB1_6 Depth=1
	v_cmp_nle_f64_e32 vcc_lo, 1.0, v[16:17]
	v_cmp_nle_f64_e64 s0, 1.0, v[14:15]
	v_cmp_nle_f64_e64 s1, 1.0, v[8:9]
	s_delay_alu instid0(VALU_DEP_2)
	s_or_b32 s0, vcc_lo, s0
	s_delay_alu instid0(VALU_DEP_1) | instid1(SALU_CYCLE_1)
	s_or_b32 s0, s0, s1
	s_delay_alu instid0(SALU_CYCLE_1)
	s_and_b32 exec_lo, exec_lo, s0
	s_cbranch_execz .LBB1_99
; %bb.91:                               ;   in Loop: Header=BB1_6 Depth=1
	s_lshl_b32 s0, s5, 3
	s_lshl_b32 s4, s4, 3
	v_add_nc_u32_e64 v18, 0xf0, s0
	s_add_i32 s0, s4, 0xf0
	s_lshl_b32 s3, s3, 3
	s_lshl_b32 s2, s2, 3
	s_delay_alu instid0(VALU_DEP_1)
	v_add_nc_u32_e32 v19, 64, v18
	s_clause 0x1
	scratch_load_b64 v[19:20], v19, off
	scratch_load_b64 v[21:22], off, s0 offset:64
	s_add_i32 s0, s3, 0xf0
	scratch_load_b64 v[23:24], off, s0 offset:64
	s_add_i32 s0, s2, 0xf0
	scratch_load_b64 v[25:26], off, s0 offset:64
	s_waitcnt vmcnt(2)
	v_add_f64 v[19:20], v[19:20], v[21:22]
	s_waitcnt vmcnt(1)
	v_add_f64 v[21:22], v[23:24], -v[4:5]
	s_delay_alu instid0(VALU_DEP_2) | instskip(SKIP_2) | instid1(VALU_DEP_3)
	v_add_f64 v[19:20], v[19:20], v[23:24]
	s_waitcnt vmcnt(0)
	v_add_f64 v[23:24], v[25:26], -v[4:5]
	v_mul_f64 v[36:37], v[30:31], v[21:22]
	s_delay_alu instid0(VALU_DEP_3) | instskip(NEXT) | instid1(VALU_DEP_3)
	v_add_f64 v[19:20], v[19:20], v[25:26]
	v_mul_f64 v[24:25], v[30:31], v[23:24]
	s_delay_alu instid0(VALU_DEP_3) | instskip(NEXT) | instid1(VALU_DEP_3)
	v_cmp_ngt_f64_e32 vcc_lo, 0, v[36:37]
	v_fma_f64 v[19:20], 0x3fd00000, v[19:20], -v[4:5]
	s_delay_alu instid0(VALU_DEP_3) | instskip(NEXT) | instid1(VALU_DEP_2)
	v_cmp_ngt_f64_e64 s1, 0, v[24:25]
	v_mul_f64 v[26:27], v[30:31], v[19:20]
	s_delay_alu instid0(VALU_DEP_1) | instskip(NEXT) | instid1(VALU_DEP_1)
	v_cmp_ngt_f64_e64 s0, 0, v[26:27]
	s_or_b32 s0, vcc_lo, s0
	s_delay_alu instid0(VALU_DEP_3) | instid1(SALU_CYCLE_1)
	s_or_b32 s0, s0, s1
	s_delay_alu instid0(SALU_CYCLE_1)
	s_and_b32 exec_lo, exec_lo, s0
	s_cbranch_execz .LBB1_99
; %bb.92:                               ;   in Loop: Header=BB1_6 Depth=1
	v_cmp_nle_f64_e32 vcc_lo, 1.0, v[36:37]
	v_cmp_nle_f64_e64 s0, 1.0, v[26:27]
	v_cmp_nle_f64_e64 s1, 1.0, v[24:25]
	s_delay_alu instid0(VALU_DEP_2)
	s_or_b32 s0, vcc_lo, s0
	s_delay_alu instid0(VALU_DEP_1) | instid1(SALU_CYCLE_1)
	s_or_b32 s0, s0, s1
	s_delay_alu instid0(SALU_CYCLE_1)
	s_and_b32 exec_lo, exec_lo, s0
	s_cbranch_execz .LBB1_99
; %bb.93:                               ;   in Loop: Header=BB1_6 Depth=1
	v_add_nc_u32_e32 v18, 0x80, v18
	v_add_nc_u32_e64 v20, 0xf0, s4
	v_add_nc_u32_e64 v22, 0xf0, s3
	;; [unrolled: 1-line block ×3, first 2 shown]
	s_clause 0x3
	scratch_load_b64 v[18:19], v18, off
	scratch_load_b64 v[20:21], v20, off offset:128
	scratch_load_b64 v[22:23], v22, off offset:128
	;; [unrolled: 1-line block ×3, first 2 shown]
	s_waitcnt vmcnt(2)
	v_add_f64 v[18:19], v[18:19], v[20:21]
	s_waitcnt vmcnt(1)
	s_delay_alu instid0(VALU_DEP_1) | instskip(SKIP_2) | instid1(VALU_DEP_2)
	v_add_f64 v[18:19], v[18:19], v[22:23]
	v_add_f64 v[22:23], v[22:23], -v[6:7]
	s_waitcnt vmcnt(0)
	v_add_f64 v[18:19], v[18:19], v[39:40]
	s_delay_alu instid0(VALU_DEP_2) | instskip(NEXT) | instid1(VALU_DEP_2)
	v_cmp_ngt_f64_e32 vcc_lo, 0, v[22:23]
	v_fma_f64 v[20:21], 0x3fd00000, v[18:19], -v[6:7]
	v_add_f64 v[18:19], v[39:40], -v[6:7]
	s_delay_alu instid0(VALU_DEP_2) | instskip(NEXT) | instid1(VALU_DEP_2)
	v_cmp_ngt_f64_e64 s0, 0, v[20:21]
	v_cmp_ngt_f64_e64 s1, 0, v[18:19]
	s_delay_alu instid0(VALU_DEP_2)
	s_or_b32 s0, vcc_lo, s0
	s_delay_alu instid0(VALU_DEP_1) | instid1(SALU_CYCLE_1)
	s_or_b32 s0, s0, s1
	s_delay_alu instid0(SALU_CYCLE_1)
	s_and_b32 exec_lo, exec_lo, s0
	s_cbranch_execz .LBB1_99
; %bb.94:                               ;   in Loop: Header=BB1_6 Depth=1
	v_cmp_le_f64_e32 vcc_lo, 0, v[16:17]
	v_cmp_le_f64_e64 s0, 0, v[14:15]
	v_cmp_le_f64_e64 s1, 0, v[8:9]
	v_cmp_gt_f64_e64 s2, 1.0, v[16:17]
	v_cmp_gt_f64_e64 s3, 1.0, v[14:15]
	;; [unrolled: 1-line block ×3, first 2 shown]
	v_cmp_le_f64_e64 s5, 0, v[36:37]
	v_cmp_le_f64_e64 s6, 0, v[26:27]
	;; [unrolled: 1-line block ×3, first 2 shown]
	v_cmp_gt_f64_e64 s8, 1.0, v[36:37]
	v_cmp_gt_f64_e64 s9, 1.0, v[26:27]
	;; [unrolled: 1-line block ×3, first 2 shown]
	v_mov_b32_e32 v8, 8
	s_and_b32 s0, vcc_lo, s0
	s_delay_alu instid0(SALU_CYCLE_1) | instskip(NEXT) | instid1(SALU_CYCLE_1)
	s_and_b32 s0, s0, s1
	s_and_b32 s0, s2, s0
	s_delay_alu instid0(SALU_CYCLE_1) | instskip(NEXT) | instid1(SALU_CYCLE_1)
	s_and_b32 s0, s0, s3
	s_and_b32 s0, s0, s4
	;; [unrolled: 3-line block ×3, first 2 shown]
	s_delay_alu instid0(SALU_CYCLE_1)
	s_and_b32 s0, s0, s7
	s_delay_alu instid0(VALU_DEP_4) | instid1(SALU_CYCLE_1)
	s_and_b32 s0, s8, s0
	s_delay_alu instid0(VALU_DEP_3) | instid1(SALU_CYCLE_1)
	s_and_b32 s0, s0, s9
	s_delay_alu instid0(VALU_DEP_2) | instid1(SALU_CYCLE_1)
	s_and_b32 s0, s0, s10
	s_delay_alu instid0(SALU_CYCLE_1)
	s_and_saveexec_b32 s5, s0
	s_cbranch_execz .LBB1_98
; %bb.95:                               ;   in Loop: Header=BB1_6 Depth=1
	v_cmp_nge_f64_e32 vcc_lo, v[22:23], v[34:35]
	v_cmp_nge_f64_e64 s0, v[20:21], v[34:35]
	v_cmp_nge_f64_e64 s1, v[18:19], v[34:35]
	v_mov_b32_e32 v8, 4
	s_delay_alu instid0(VALU_DEP_3)
	s_or_b32 s0, vcc_lo, s0
	s_delay_alu instid0(VALU_DEP_2) | instid1(SALU_CYCLE_1)
	s_or_b32 s0, s0, s1
	s_delay_alu instid0(SALU_CYCLE_1)
	s_and_saveexec_b32 s6, s0
	s_cbranch_execz .LBB1_97
; %bb.96:                               ;   in Loop: Header=BB1_6 Depth=1
	v_cmp_le_f64_e32 vcc_lo, 0, v[22:23]
	v_cmp_le_f64_e64 s0, 0, v[20:21]
	v_cmp_le_f64_e64 s1, 0, v[18:19]
	v_cmp_lt_f64_e64 s2, v[22:23], v[34:35]
	v_cmp_lt_f64_e64 s3, v[20:21], v[34:35]
	;; [unrolled: 1-line block ×3, first 2 shown]
	s_and_b32 s0, vcc_lo, s0
	s_delay_alu instid0(VALU_DEP_4) | instid1(SALU_CYCLE_1)
	s_and_b32 s0, s0, s1
	s_delay_alu instid0(VALU_DEP_3) | instid1(SALU_CYCLE_1)
	s_and_b32 s0, s2, s0
	s_delay_alu instid0(VALU_DEP_2) | instid1(SALU_CYCLE_1)
	s_and_b32 s0, s0, s3
	s_delay_alu instid0(VALU_DEP_1) | instid1(SALU_CYCLE_1)
	s_and_b32 s0, s0, s4
	s_delay_alu instid0(SALU_CYCLE_1)
	v_cndmask_b32_e64 v8, v38, 0, s0
.LBB1_97:                               ;   in Loop: Header=BB1_6 Depth=1
	s_or_b32 exec_lo, exec_lo, s6
.LBB1_98:                               ;   in Loop: Header=BB1_6 Depth=1
	s_delay_alu instid0(SALU_CYCLE_1)
	s_or_b32 exec_lo, exec_lo, s5
	scratch_load_b32 v9, v8, off
	s_waitcnt vmcnt(0)
	v_lshl_or_b32 v9, 4, s11, v9
	scratch_store_b32 v8, v9, off
.LBB1_99:                               ;   in Loop: Header=BB1_6 Depth=1
	s_or_b32 exec_lo, exec_lo, s16
	s_cmp_lt_i32 s14, 2
	s_cbranch_scc1 .LBB1_104
; %bb.100:                              ;   in Loop: Header=BB1_6 Depth=1
	s_cmp_gt_i32 s14, 2
	s_cbranch_scc0 .LBB1_105
; %bb.101:                              ;   in Loop: Header=BB1_6 Depth=1
	s_cmp_gt_i32 s14, 3
	s_cbranch_scc0 .LBB1_106
; %bb.102:                              ;   in Loop: Header=BB1_6 Depth=1
	s_cmp_eq_u32 s14, 4
	s_cbranch_scc0 .LBB1_107
; %bb.103:                              ;   in Loop: Header=BB1_6 Depth=1
	v_mov_b32_e32 v8, 0xf0
	s_mov_b32 s0, 0
	s_mov_b32 s5, 0
	;; [unrolled: 1-line block ×5, first 2 shown]
	s_branch .LBB1_108
.LBB1_104:                              ;   in Loop: Header=BB1_6 Depth=1
	s_mov_b32 s0, 0
                                        ; implicit-def: $sgpr2
                                        ; implicit-def: $vgpr9
                                        ; implicit-def: $sgpr3
                                        ; implicit-def: $vgpr14
                                        ; implicit-def: $sgpr4
                                        ; implicit-def: $vgpr15
                                        ; implicit-def: $sgpr5
                                        ; implicit-def: $vgpr8
	s_cbranch_execnz .LBB1_113
	s_branch .LBB1_118
.LBB1_105:                              ;   in Loop: Header=BB1_6 Depth=1
	s_mov_b32 s0, 0
                                        ; implicit-def: $sgpr2
                                        ; implicit-def: $vgpr9
                                        ; implicit-def: $sgpr3
                                        ; implicit-def: $vgpr14
                                        ; implicit-def: $sgpr4
                                        ; implicit-def: $vgpr15
                                        ; implicit-def: $sgpr5
                                        ; implicit-def: $vgpr8
	s_cbranch_execnz .LBB1_111
	s_branch .LBB1_112
.LBB1_106:                              ;   in Loop: Header=BB1_6 Depth=1
	s_mov_b32 s0, 0
                                        ; implicit-def: $sgpr2
                                        ; implicit-def: $vgpr9
                                        ; implicit-def: $sgpr3
                                        ; implicit-def: $vgpr14
                                        ; implicit-def: $sgpr4
                                        ; implicit-def: $vgpr15
                                        ; implicit-def: $sgpr5
                                        ; implicit-def: $vgpr8
	s_cbranch_execnz .LBB1_109
	s_branch .LBB1_110
.LBB1_107:                              ;   in Loop: Header=BB1_6 Depth=1
	s_mov_b32 s0, -1
                                        ; implicit-def: $sgpr2
                                        ; implicit-def: $sgpr3
                                        ; implicit-def: $sgpr4
                                        ; implicit-def: $sgpr5
                                        ; implicit-def: $vgpr8
.LBB1_108:                              ;   in Loop: Header=BB1_6 Depth=1
	v_dual_mov_b32 v9, v58 :: v_dual_mov_b32 v14, v61
	v_mov_b32_e32 v15, v60
	s_branch .LBB1_110
.LBB1_109:                              ;   in Loop: Header=BB1_6 Depth=1
	v_dual_mov_b32 v9, v59 :: v_dual_mov_b32 v8, v58
	v_dual_mov_b32 v14, v63 :: v_dual_mov_b32 v15, v61
	s_mov_b32 s5, 2
	s_mov_b32 s4, 3
	;; [unrolled: 1-line block ×4, first 2 shown]
.LBB1_110:                              ;   in Loop: Header=BB1_6 Depth=1
	s_branch .LBB1_112
.LBB1_111:                              ;   in Loop: Header=BB1_6 Depth=1
	v_dual_mov_b32 v8, 0xf0 :: v_dual_mov_b32 v9, v60
	v_dual_mov_b32 v14, v57 :: v_dual_mov_b32 v15, v62
	s_mov_b32 s5, 0
	s_mov_b32 s4, 4
	s_mov_b32 s3, 5
	s_mov_b32 s2, 1
.LBB1_112:                              ;   in Loop: Header=BB1_6 Depth=1
	s_branch .LBB1_118
.LBB1_113:                              ;   in Loop: Header=BB1_6 Depth=1
	s_cmp_gt_i32 s14, 0
	s_cbranch_scc0 .LBB1_115
; %bb.114:                              ;   in Loop: Header=BB1_6 Depth=1
	s_mov_b32 s1, 0
	s_mov_b32 s5, 1
	;; [unrolled: 1-line block ×5, first 2 shown]
	s_branch .LBB1_116
.LBB1_115:                              ;   in Loop: Header=BB1_6 Depth=1
	s_mov_b32 s1, -1
                                        ; implicit-def: $sgpr2
                                        ; implicit-def: $sgpr3
                                        ; implicit-def: $sgpr4
                                        ; implicit-def: $sgpr5
.LBB1_116:                              ;   in Loop: Header=BB1_6 Depth=1
	v_dual_mov_b32 v9, v61 :: v_dual_mov_b32 v14, v63
	v_dual_mov_b32 v15, v57 :: v_dual_mov_b32 v8, v60
	s_and_not1_b32 vcc_lo, exec_lo, s1
	s_cbranch_vccnz .LBB1_118
; %bb.117:                              ;   in Loop: Header=BB1_6 Depth=1
	v_dual_mov_b32 v8, 0xf0 :: v_dual_mov_b32 v9, v62
	v_dual_mov_b32 v14, v59 :: v_dual_mov_b32 v15, v58
	s_cmp_lg_u32 s14, 0
	s_mov_b32 s4, 2
	s_mov_b32 s3, 6
	s_mov_b32 s2, 4
	s_cselect_b32 s0, -1, 0
	s_mov_b32 s5, s14
.LBB1_118:                              ;   in Loop: Header=BB1_6 Depth=1
	s_and_b32 vcc_lo, exec_lo, s0
	s_cbranch_vccz .LBB1_120
; %bb.119:                              ;   in Loop: Header=BB1_6 Depth=1
	v_dual_mov_b32 v8, v62 :: v_dual_mov_b32 v15, v59
	v_dual_mov_b32 v14, v63 :: v_dual_mov_b32 v9, v57
	s_mov_b32 s2, 5
	s_mov_b32 s3, 7
	;; [unrolled: 1-line block ×4, first 2 shown]
.LBB1_120:                              ;   in Loop: Header=BB1_6 Depth=1
	scratch_load_b64 v[16:17], v8, off
	scratch_load_b64 v[18:19], v15, off
	;; [unrolled: 1-line block ×4, first 2 shown]
	s_waitcnt vmcnt(2)
	v_add_f64 v[18:19], v[16:17], v[18:19]
	s_waitcnt vmcnt(1)
	s_delay_alu instid0(VALU_DEP_1) | instskip(SKIP_2) | instid1(VALU_DEP_2)
	v_add_f64 v[14:15], v[18:19], v[14:15]
	v_add_f64 v[18:19], v[16:17], -v[0:1]
	s_waitcnt vmcnt(0)
	v_add_f64 v[14:15], v[14:15], v[8:9]
	v_add_f64 v[8:9], v[8:9], -v[0:1]
	s_delay_alu instid0(VALU_DEP_2) | instskip(NEXT) | instid1(VALU_DEP_2)
	v_fma_f64 v[14:15], 0x3fd00000, v[14:15], -v[0:1]
	v_mul_f64 v[16:17], v[32:33], v[8:9]
	v_mul_f64 v[8:9], v[32:33], v[18:19]
	s_delay_alu instid0(VALU_DEP_3) | instskip(NEXT) | instid1(VALU_DEP_3)
	v_mul_f64 v[14:15], v[32:33], v[14:15]
	v_cmp_ngt_f64_e32 vcc_lo, 0, v[16:17]
	s_delay_alu instid0(VALU_DEP_3) | instskip(NEXT) | instid1(VALU_DEP_3)
	v_cmp_ngt_f64_e64 s1, 0, v[8:9]
	v_cmp_ngt_f64_e64 s0, 0, v[14:15]
	s_delay_alu instid0(VALU_DEP_1)
	s_or_b32 s0, vcc_lo, s0
	s_delay_alu instid0(VALU_DEP_2) | instid1(SALU_CYCLE_1)
	s_or_b32 s0, s0, s1
	s_delay_alu instid0(SALU_CYCLE_1)
	s_and_saveexec_b32 s16, s0
	s_cbranch_execz .LBB1_5
; %bb.121:                              ;   in Loop: Header=BB1_6 Depth=1
	v_cmp_nle_f64_e32 vcc_lo, 1.0, v[16:17]
	v_cmp_nle_f64_e64 s0, 1.0, v[14:15]
	v_cmp_nle_f64_e64 s1, 1.0, v[8:9]
	s_delay_alu instid0(VALU_DEP_2)
	s_or_b32 s0, vcc_lo, s0
	s_delay_alu instid0(VALU_DEP_1) | instid1(SALU_CYCLE_1)
	s_or_b32 s0, s0, s1
	s_delay_alu instid0(SALU_CYCLE_1)
	s_and_b32 exec_lo, exec_lo, s0
	s_cbranch_execz .LBB1_5
; %bb.122:                              ;   in Loop: Header=BB1_6 Depth=1
	s_lshl_b32 s0, s5, 3
	s_lshl_b32 s4, s4, 3
	v_add_nc_u32_e64 v18, 0xf0, s0
	s_add_i32 s0, s4, 0xf0
	s_lshl_b32 s3, s3, 3
	s_lshl_b32 s2, s2, 3
	s_delay_alu instid0(VALU_DEP_1)
	v_add_nc_u32_e32 v19, 64, v18
	s_clause 0x1
	scratch_load_b64 v[19:20], v19, off
	scratch_load_b64 v[21:22], off, s0 offset:64
	s_add_i32 s0, s3, 0xf0
	scratch_load_b64 v[23:24], off, s0 offset:64
	s_add_i32 s0, s2, 0xf0
	scratch_load_b64 v[25:26], off, s0 offset:64
	s_waitcnt vmcnt(2)
	v_add_f64 v[21:22], v[19:20], v[21:22]
	v_add_f64 v[19:20], v[19:20], -v[4:5]
	s_waitcnt vmcnt(1)
	s_delay_alu instid0(VALU_DEP_2) | instskip(SKIP_2) | instid1(VALU_DEP_2)
	v_add_f64 v[21:22], v[21:22], v[23:24]
	s_waitcnt vmcnt(0)
	v_add_f64 v[23:24], v[25:26], -v[4:5]
	v_add_f64 v[21:22], v[21:22], v[25:26]
	s_delay_alu instid0(VALU_DEP_2) | instskip(SKIP_1) | instid1(VALU_DEP_3)
	v_mul_f64 v[36:37], v[30:31], v[23:24]
	v_mul_f64 v[24:25], v[30:31], v[19:20]
	v_fma_f64 v[21:22], 0x3fd00000, v[21:22], -v[4:5]
	s_delay_alu instid0(VALU_DEP_3) | instskip(NEXT) | instid1(VALU_DEP_3)
	v_cmp_ngt_f64_e32 vcc_lo, 0, v[36:37]
	v_cmp_ngt_f64_e64 s1, 0, v[24:25]
	s_delay_alu instid0(VALU_DEP_3) | instskip(NEXT) | instid1(VALU_DEP_1)
	v_mul_f64 v[26:27], v[30:31], v[21:22]
	v_cmp_ngt_f64_e64 s0, 0, v[26:27]
	s_delay_alu instid0(VALU_DEP_1)
	s_or_b32 s0, vcc_lo, s0
	s_delay_alu instid0(VALU_DEP_3) | instid1(SALU_CYCLE_1)
	s_or_b32 s0, s0, s1
	s_delay_alu instid0(SALU_CYCLE_1)
	s_and_b32 exec_lo, exec_lo, s0
	s_cbranch_execz .LBB1_5
; %bb.123:                              ;   in Loop: Header=BB1_6 Depth=1
	v_cmp_nle_f64_e32 vcc_lo, 1.0, v[36:37]
	v_cmp_nle_f64_e64 s0, 1.0, v[26:27]
	v_cmp_nle_f64_e64 s1, 1.0, v[24:25]
	s_delay_alu instid0(VALU_DEP_2)
	s_or_b32 s0, vcc_lo, s0
	s_delay_alu instid0(VALU_DEP_1) | instid1(SALU_CYCLE_1)
	s_or_b32 s0, s0, s1
	s_delay_alu instid0(SALU_CYCLE_1)
	s_and_b32 exec_lo, exec_lo, s0
	s_cbranch_execz .LBB1_5
; %bb.124:                              ;   in Loop: Header=BB1_6 Depth=1
	v_add_nc_u32_e32 v18, 0x80, v18
	v_add_nc_u32_e64 v20, 0xf0, s4
	v_add_nc_u32_e64 v22, 0xf0, s3
	;; [unrolled: 1-line block ×3, first 2 shown]
	s_clause 0x3
	scratch_load_b64 v[18:19], v18, off
	scratch_load_b64 v[20:21], v20, off offset:128
	scratch_load_b64 v[22:23], v22, off offset:128
	;; [unrolled: 1-line block ×3, first 2 shown]
	s_waitcnt vmcnt(2)
	v_add_f64 v[20:21], v[18:19], v[20:21]
	v_add_f64 v[18:19], v[18:19], -v[6:7]
	s_waitcnt vmcnt(1)
	s_delay_alu instid0(VALU_DEP_2) | instskip(SKIP_2) | instid1(VALU_DEP_3)
	v_add_f64 v[20:21], v[20:21], v[22:23]
	s_waitcnt vmcnt(0)
	v_add_f64 v[22:23], v[39:40], -v[6:7]
	v_cmp_ngt_f64_e64 s1, 0, v[18:19]
	s_delay_alu instid0(VALU_DEP_3) | instskip(NEXT) | instid1(VALU_DEP_3)
	v_add_f64 v[20:21], v[20:21], v[39:40]
	v_cmp_ngt_f64_e32 vcc_lo, 0, v[22:23]
	s_delay_alu instid0(VALU_DEP_2) | instskip(NEXT) | instid1(VALU_DEP_1)
	v_fma_f64 v[20:21], 0x3fd00000, v[20:21], -v[6:7]
	v_cmp_ngt_f64_e64 s0, 0, v[20:21]
	s_delay_alu instid0(VALU_DEP_1) | instskip(NEXT) | instid1(SALU_CYCLE_1)
	s_or_b32 s0, vcc_lo, s0
	s_or_b32 s0, s0, s1
	s_delay_alu instid0(SALU_CYCLE_1)
	s_and_b32 exec_lo, exec_lo, s0
	s_cbranch_execz .LBB1_5
; %bb.125:                              ;   in Loop: Header=BB1_6 Depth=1
	v_cmp_le_f64_e32 vcc_lo, 0, v[16:17]
	v_cmp_le_f64_e64 s0, 0, v[14:15]
	v_cmp_le_f64_e64 s1, 0, v[8:9]
	v_cmp_gt_f64_e64 s2, 1.0, v[16:17]
	v_cmp_gt_f64_e64 s3, 1.0, v[14:15]
	;; [unrolled: 1-line block ×3, first 2 shown]
	v_cmp_le_f64_e64 s5, 0, v[36:37]
	v_cmp_le_f64_e64 s6, 0, v[26:27]
	;; [unrolled: 1-line block ×3, first 2 shown]
	v_cmp_gt_f64_e64 s8, 1.0, v[36:37]
	v_cmp_gt_f64_e64 s9, 1.0, v[26:27]
	v_cmp_gt_f64_e64 s10, 1.0, v[24:25]
	v_mov_b32_e32 v8, 8
	s_and_b32 s0, vcc_lo, s0
	s_delay_alu instid0(SALU_CYCLE_1) | instskip(NEXT) | instid1(SALU_CYCLE_1)
	s_and_b32 s0, s0, s1
	s_and_b32 s0, s2, s0
	s_delay_alu instid0(SALU_CYCLE_1) | instskip(NEXT) | instid1(SALU_CYCLE_1)
	s_and_b32 s0, s0, s3
	s_and_b32 s0, s0, s4
	;; [unrolled: 3-line block ×3, first 2 shown]
	s_delay_alu instid0(SALU_CYCLE_1)
	s_and_b32 s0, s0, s7
	s_delay_alu instid0(VALU_DEP_4) | instid1(SALU_CYCLE_1)
	s_and_b32 s0, s8, s0
	s_delay_alu instid0(VALU_DEP_3) | instid1(SALU_CYCLE_1)
	s_and_b32 s0, s0, s9
	s_delay_alu instid0(VALU_DEP_2) | instid1(SALU_CYCLE_1)
	s_and_b32 s0, s0, s10
	s_delay_alu instid0(SALU_CYCLE_1)
	s_and_saveexec_b32 s5, s0
	s_cbranch_execz .LBB1_4
; %bb.126:                              ;   in Loop: Header=BB1_6 Depth=1
	v_cmp_nge_f64_e32 vcc_lo, v[22:23], v[34:35]
	v_cmp_nge_f64_e64 s0, v[20:21], v[34:35]
	v_cmp_nge_f64_e64 s1, v[18:19], v[34:35]
	v_mov_b32_e32 v8, 4
	s_delay_alu instid0(VALU_DEP_3)
	s_or_b32 s0, vcc_lo, s0
	s_delay_alu instid0(VALU_DEP_2) | instid1(SALU_CYCLE_1)
	s_or_b32 s0, s0, s1
	s_delay_alu instid0(SALU_CYCLE_1)
	s_and_saveexec_b32 s6, s0
	s_cbranch_execz .LBB1_3
; %bb.127:                              ;   in Loop: Header=BB1_6 Depth=1
	v_cmp_le_f64_e32 vcc_lo, 0, v[22:23]
	v_cmp_le_f64_e64 s0, 0, v[20:21]
	v_cmp_le_f64_e64 s1, 0, v[18:19]
	v_cmp_lt_f64_e64 s2, v[22:23], v[34:35]
	v_cmp_lt_f64_e64 s3, v[20:21], v[34:35]
	;; [unrolled: 1-line block ×3, first 2 shown]
	s_and_b32 s0, vcc_lo, s0
	s_delay_alu instid0(VALU_DEP_4) | instid1(SALU_CYCLE_1)
	s_and_b32 s0, s0, s1
	s_delay_alu instid0(VALU_DEP_3) | instid1(SALU_CYCLE_1)
	s_and_b32 s0, s2, s0
	s_delay_alu instid0(VALU_DEP_2) | instid1(SALU_CYCLE_1)
	s_and_b32 s0, s0, s3
	s_delay_alu instid0(VALU_DEP_1) | instid1(SALU_CYCLE_1)
	s_and_b32 s0, s0, s4
	s_delay_alu instid0(SALU_CYCLE_1)
	v_cndmask_b32_e64 v8, v38, 0, s0
	s_branch .LBB1_3
.LBB1_128:
	scratch_load_b32 v8, off, off offset:8
	s_mov_b32 s0, exec_lo
	s_waitcnt vmcnt(0)
	v_dual_mov_b32 v40, 0 :: v_dual_and_b32 v9, 1, v8
	s_delay_alu instid0(VALU_DEP_1)
	v_cmpx_eq_u32_e32 1, v9
	s_cbranch_execz .LBB1_130
; %bb.129:
	v_dual_mov_b32 v9, 0 :: v_dual_mov_b32 v40, 1
	scratch_store_b8 off, v9, off offset:16
.LBB1_130:
	s_or_b32 exec_lo, exec_lo, s0
	v_and_b32_e32 v9, 2, v8
	s_mov_b32 s0, exec_lo
	s_delay_alu instid0(VALU_DEP_1)
	v_cmpx_ne_u32_e32 0, v9
	s_cbranch_execz .LBB1_132
; %bb.131:
	v_add_nc_u32_e32 v9, 1, v40
	v_or_b32_e32 v14, 16, v40
	s_delay_alu instid0(VALU_DEP_2)
	v_dual_mov_b32 v15, 1 :: v_dual_mov_b32 v40, v9
	scratch_store_b8 v14, v15, off
.LBB1_132:
	s_or_b32 exec_lo, exec_lo, s0
	v_and_b32_e32 v9, 4, v8
	s_mov_b32 s0, exec_lo
	s_delay_alu instid0(VALU_DEP_1)
	v_cmpx_ne_u32_e32 0, v9
	s_cbranch_execz .LBB1_134
; %bb.133:
	v_add_nc_u32_e32 v9, 1, v40
	v_or_b32_e32 v14, 16, v40
	s_delay_alu instid0(VALU_DEP_2)
	v_dual_mov_b32 v15, 2 :: v_dual_mov_b32 v40, v9
	scratch_store_b8 v14, v15, off
.LBB1_134:
	;; [unrolled: 13-line block ×4, first 2 shown]
	s_or_b32 exec_lo, exec_lo, s0
	v_and_b32_e32 v9, 32, v8
	s_mov_b32 s0, exec_lo
	s_delay_alu instid0(VALU_DEP_1)
	v_cmpx_ne_u32_e32 0, v9
	s_cbranch_execz .LBB1_140
; %bb.139:
	v_dual_mov_b32 v9, 5 :: v_dual_add_nc_u32 v14, 1, v40
	scratch_store_b8 v40, v9, off offset:16
	v_mov_b32_e32 v40, v14
.LBB1_140:
	s_or_b32 exec_lo, exec_lo, s0
	v_and_b32_e32 v9, 64, v8
	s_mov_b32 s0, exec_lo
	s_delay_alu instid0(VALU_DEP_1)
	v_cmpx_ne_u32_e32 0, v9
	s_cbranch_execz .LBB1_142
; %bb.141:
	v_dual_mov_b32 v9, 6 :: v_dual_add_nc_u32 v14, 1, v40
	scratch_store_b8 v40, v9, off offset:16
	v_mov_b32_e32 v40, v14
.LBB1_142:
	;; [unrolled: 11-line block ×19, first 2 shown]
	s_or_b32 exec_lo, exec_lo, s0
	v_mul_f64 v[36:37], v[10:11], 0.5
	v_mul_f64 v[38:39], v[12:13], 0.5
	v_mov_b32_e32 v10, 0
	v_dual_mov_b32 v11, 0 :: v_dual_and_b32 v8, 63, v41
	s_mov_b32 s7, 0
	s_mov_b64 s[2:3], 0
	s_mov_b32 s6, exec_lo
	s_delay_alu instid0(VALU_DEP_1)
	v_mul_u32_u24_e32 v65, 0xf8, v8
	v_dual_mov_b32 v8, v10 :: v_dual_mov_b32 v9, v11
	v_dual_mov_b32 v15, v11 :: v_dual_mov_b32 v14, v10
	v_dual_mov_b32 v13, v11 :: v_dual_mov_b32 v12, v10
	v_cmpx_ne_u32_e32 0, v40
	s_cbranch_execz .LBB1_340
; %bb.177:
	v_dual_mov_b32 v12, 0 :: v_dual_add_nc_u32 v69, 0xa8, v65
	v_dual_mov_b32 v13, 0 :: v_dual_add_nc_u32 v68, 8, v65
	;; [unrolled: 1-line block ×3, first 2 shown]
	v_add_nc_u32_e32 v70, 16, v65
	s_delay_alu instid0(VALU_DEP_4)
	v_dual_mov_b32 v8, v12 :: v_dual_add_nc_u32 v73, 0x98, v65
	v_dual_mov_b32 v10, v12 :: v_dual_add_nc_u32 v77, 16, v65
	;; [unrolled: 1-line block ×3, first 2 shown]
	v_mov_b32_e32 v41, v42
	v_dual_mov_b32 v14, v12 :: v_dual_add_nc_u32 v71, 0xb0, v65
	v_dual_mov_b32 v9, v13 :: v_dual_add_nc_u32 v72, 0x58, v65
	;; [unrolled: 1-line block ×4, first 2 shown]
	v_add_nc_u32_e32 v76, -8, v65
	s_mov_b32 s4, 0x55555555
	s_mov_b32 s5, 0x3fd55555
	s_add_i32 s8, 48, 64
	s_branch .LBB1_179
.LBB1_178:                              ;   in Loop: Header=BB1_179 Depth=1
	s_or_b32 exec_lo, exec_lo, s0
	s_add_u32 s2, s2, 1
	s_addc_u32 s3, s3, 0
	s_delay_alu instid0(SALU_CYCLE_1) | instskip(SKIP_1) | instid1(SALU_CYCLE_1)
	v_cmp_eq_u64_e32 vcc_lo, s[2:3], v[40:41]
	s_or_b32 s7, vcc_lo, s7
	s_and_not1_b32 exec_lo, exec_lo, s7
	s_cbranch_execz .LBB1_339
.LBB1_179:                              ; =>This Loop Header: Depth=1
                                        ;     Child Loop BB1_240 Depth 2
                                        ;     Child Loop BB1_254 Depth 2
	;; [unrolled: 1-line block ×11, first 2 shown]
	s_add_i32 s0, s2, 16
                                        ; implicit-def: $vgpr21
                                        ; implicit-def: $vgpr16
                                        ; implicit-def: $vgpr20
                                        ; implicit-def: $vgpr17
                                        ; implicit-def: $vgpr22
                                        ; implicit-def: $vgpr24
                                        ; implicit-def: $vgpr23
	scratch_load_u8 v19, off, s0
	s_mov_b32 s0, exec_lo
	s_waitcnt vmcnt(0)
	v_lshrrev_b32_e32 v18, 2, v19
	s_delay_alu instid0(VALU_DEP_1)
	v_cmpx_lt_i32_e32 1, v18
	s_xor_b32 s0, exec_lo, s0
	s_cbranch_execz .LBB1_193
; %bb.180:                              ;   in Loop: Header=BB1_179 Depth=1
	s_mov_b32 s1, exec_lo
                                        ; implicit-def: $vgpr21
                                        ; implicit-def: $vgpr16
                                        ; implicit-def: $vgpr20
                                        ; implicit-def: $vgpr17
                                        ; implicit-def: $vgpr22
                                        ; implicit-def: $vgpr24
                                        ; implicit-def: $vgpr23
	v_cmpx_lt_i32_e32 2, v18
	s_xor_b32 s1, exec_lo, s1
	s_cbranch_execz .LBB1_190
; %bb.181:                              ;   in Loop: Header=BB1_179 Depth=1
	s_mov_b32 s9, exec_lo
                                        ; implicit-def: $vgpr21
                                        ; implicit-def: $vgpr16
                                        ; implicit-def: $vgpr20
                                        ; implicit-def: $vgpr17
                                        ; implicit-def: $vgpr22
                                        ; implicit-def: $vgpr24
                                        ; implicit-def: $vgpr23
	v_cmpx_lt_i32_e32 3, v18
	s_xor_b32 s9, exec_lo, s9
	s_cbranch_execz .LBB1_187
; %bb.182:                              ;   in Loop: Header=BB1_179 Depth=1
	s_mov_b32 s10, exec_lo
                                        ; implicit-def: $sgpr11
                                        ; implicit-def: $sgpr14
                                        ; implicit-def: $sgpr15
                                        ; implicit-def: $sgpr16
	v_cmpx_ne_u32_e32 4, v18
	s_xor_b32 s10, exec_lo, s10
; %bb.183:                              ;   in Loop: Header=BB1_179 Depth=1
	s_mov_b32 s16, 4
	s_mov_b32 s15, 6
	;; [unrolled: 1-line block ×4, first 2 shown]
; %bb.184:                              ;   in Loop: Header=BB1_179 Depth=1
	s_or_saveexec_b32 s10, s10
	v_dual_mov_b32 v21, s11 :: v_dual_mov_b32 v20, s14
	v_dual_mov_b32 v22, s15 :: v_dual_mov_b32 v17, v63
	;; [unrolled: 1-line block ×3, first 2 shown]
	v_mov_b32_e32 v16, v57
	v_mov_b32_e32 v24, v59
	s_xor_b32 exec_lo, exec_lo, s10
; %bb.185:                              ;   in Loop: Header=BB1_179 Depth=1
	v_dual_mov_b32 v23, 0xf0 :: v_dual_mov_b32 v20, 3
	v_dual_mov_b32 v21, 2 :: v_dual_mov_b32 v22, 1
	v_dual_mov_b32 v18, 0 :: v_dual_mov_b32 v17, v61
	v_mov_b32_e32 v16, v58
	v_mov_b32_e32 v24, v60
; %bb.186:                              ;   in Loop: Header=BB1_179 Depth=1
	s_or_b32 exec_lo, exec_lo, s10
.LBB1_187:                              ;   in Loop: Header=BB1_179 Depth=1
	s_and_not1_saveexec_b32 s9, s9
; %bb.188:                              ;   in Loop: Header=BB1_179 Depth=1
	v_dual_mov_b32 v21, 6 :: v_dual_mov_b32 v20, 7
	v_dual_mov_b32 v22, 3 :: v_dual_mov_b32 v17, v63
	;; [unrolled: 1-line block ×3, first 2 shown]
	v_mov_b32_e32 v16, v59
	v_mov_b32_e32 v24, v61
; %bb.189:                              ;   in Loop: Header=BB1_179 Depth=1
	s_or_b32 exec_lo, exec_lo, s9
.LBB1_190:                              ;   in Loop: Header=BB1_179 Depth=1
	s_and_not1_saveexec_b32 s1, s1
; %bb.191:                              ;   in Loop: Header=BB1_179 Depth=1
	v_dual_mov_b32 v23, 0xf0 :: v_dual_mov_b32 v20, 5
	v_dual_mov_b32 v21, 1 :: v_dual_mov_b32 v22, 4
	;; [unrolled: 1-line block ×3, first 2 shown]
	v_mov_b32_e32 v16, v60
	v_mov_b32_e32 v24, v62
; %bb.192:                              ;   in Loop: Header=BB1_179 Depth=1
	s_or_b32 exec_lo, exec_lo, s1
.LBB1_193:                              ;   in Loop: Header=BB1_179 Depth=1
	s_and_not1_saveexec_b32 s0, s0
	s_cbranch_execz .LBB1_197
; %bb.194:                              ;   in Loop: Header=BB1_179 Depth=1
	v_dual_mov_b32 v23, 0xf0 :: v_dual_mov_b32 v20, 6
	v_dual_mov_b32 v21, 4 :: v_dual_mov_b32 v22, 2
	;; [unrolled: 1-line block ×3, first 2 shown]
	v_mov_b32_e32 v24, v58
	s_mov_b32 s1, exec_lo
	v_cmpx_lt_i32_e32 0, v18
; %bb.195:                              ;   in Loop: Header=BB1_179 Depth=1
	v_dual_mov_b32 v21, 3 :: v_dual_mov_b32 v20, 7
	v_dual_mov_b32 v22, 5 :: v_dual_mov_b32 v17, v63
	v_dual_mov_b32 v18, 1 :: v_dual_mov_b32 v23, v60
	v_mov_b32_e32 v16, v61
	v_mov_b32_e32 v24, v57
; %bb.196:                              ;   in Loop: Header=BB1_179 Depth=1
	s_or_b32 exec_lo, exec_lo, s1
.LBB1_197:                              ;   in Loop: Header=BB1_179 Depth=1
	s_delay_alu instid0(SALU_CYCLE_1)
	s_or_b32 exec_lo, exec_lo, s0
	v_lshl_add_u32 v27, v18, 3, 0xf0
	v_lshl_add_u32 v51, v22, 3, 0xf0
	;; [unrolled: 1-line block ×3, first 2 shown]
	scratch_load_b64 v[25:26], v23, off
	scratch_load_b64 v[23:24], v24, off
	s_clause 0x1
	scratch_load_b64 v[43:44], v27, off offset:64
	scratch_load_b64 v[45:46], v51, off offset:64
	scratch_load_b64 v[47:48], v17, off
	s_clause 0x2
	scratch_load_b64 v[49:50], v81, off offset:64
	scratch_load_b64 v[51:52], v51, off offset:128
	;; [unrolled: 1-line block ×3, first 2 shown]
	v_lshl_add_u32 v27, v21, 3, 0xf0
	scratch_load_b64 v[16:17], v16, off
	s_clause 0x2
	scratch_load_b64 v[55:56], v27, off offset:128
	scratch_load_b64 v[79:80], v27, off offset:64
	scratch_load_b64 v[81:82], v81, off offset:128
	s_mov_b32 s0, exec_lo
	s_waitcnt vmcnt(10)
	v_add_f64 v[23:24], v[25:26], v[23:24]
	s_waitcnt vmcnt(8)
	v_add_f64 v[25:26], v[43:44], v[45:46]
	;; [unrolled: 2-line block ×3, first 2 shown]
	s_delay_alu instid0(VALU_DEP_3) | instskip(NEXT) | instid1(VALU_DEP_3)
	v_add_f64 v[23:24], v[23:24], v[47:48]
	v_add_f64 v[25:26], v[25:26], v[49:50]
	s_waitcnt vmcnt(3)
	s_delay_alu instid0(VALU_DEP_2) | instskip(SKIP_1) | instid1(VALU_DEP_2)
	v_add_f64 v[16:17], v[23:24], v[16:17]
	s_waitcnt vmcnt(1)
	v_add_f64 v[23:24], v[25:26], v[79:80]
	s_waitcnt vmcnt(0)
	v_add_f64 v[25:26], v[43:44], v[81:82]
	s_delay_alu instid0(VALU_DEP_3) | instskip(NEXT) | instid1(VALU_DEP_3)
	v_fma_f64 v[16:17], 0x3fd00000, v[16:17], -v[0:1]
	v_fma_f64 v[23:24], 0x3fd00000, v[23:24], -v[4:5]
	s_delay_alu instid0(VALU_DEP_3) | instskip(NEXT) | instid1(VALU_DEP_3)
	v_add_f64 v[25:26], v[25:26], v[55:56]
	v_mul_f64 v[43:44], v[32:33], v[16:17]
	s_delay_alu instid0(VALU_DEP_3) | instskip(NEXT) | instid1(VALU_DEP_3)
	v_mul_f64 v[16:17], v[30:31], v[23:24]
	v_fma_f64 v[23:24], 0x3fd00000, v[25:26], -v[6:7]
	ds_store_2addr_b64 v65, v[43:44], v[16:17] offset0:1 offset1:11
	ds_store_b64 v65, v[23:24] offset:168
	v_and_b32_e32 v23, 3, v19
                                        ; implicit-def: $vgpr19
	s_delay_alu instid0(VALU_DEP_1)
	v_cmpx_lt_i32_e32 1, v23
	s_xor_b32 s0, exec_lo, s0
	s_cbranch_execz .LBB1_203
; %bb.198:                              ;   in Loop: Header=BB1_179 Depth=1
	s_mov_b32 s1, exec_lo
	v_cmpx_lt_i32_e32 2, v23
	s_xor_b32 s1, exec_lo, s1
; %bb.199:                              ;   in Loop: Header=BB1_179 Depth=1
                                        ; implicit-def: $vgpr20
; %bb.200:                              ;   in Loop: Header=BB1_179 Depth=1
	s_delay_alu instid0(SALU_CYCLE_1)
	s_or_saveexec_b32 s1, s1
	v_mov_b32_e32 v19, v21
	s_xor_b32 exec_lo, exec_lo, s1
; %bb.201:                              ;   in Loop: Header=BB1_179 Depth=1
	v_dual_mov_b32 v19, v20 :: v_dual_mov_b32 v18, v21
; %bb.202:                              ;   in Loop: Header=BB1_179 Depth=1
	s_or_b32 exec_lo, exec_lo, s1
                                        ; implicit-def: $vgpr22
                                        ; implicit-def: $vgpr20
                                        ; implicit-def: $vgpr23
.LBB1_203:                              ;   in Loop: Header=BB1_179 Depth=1
	s_and_not1_saveexec_b32 s0, s0
	s_cbranch_execz .LBB1_207
; %bb.204:                              ;   in Loop: Header=BB1_179 Depth=1
	s_mov_b32 s1, exec_lo
	v_cmpx_eq_u32_e32 1, v23
; %bb.205:                              ;   in Loop: Header=BB1_179 Depth=1
	v_mov_b32_e32 v18, v22
	v_mov_b32_e32 v22, v20
; %bb.206:                              ;   in Loop: Header=BB1_179 Depth=1
	s_or_b32 exec_lo, exec_lo, s1
	s_delay_alu instid0(VALU_DEP_2) | instskip(NEXT) | instid1(VALU_DEP_2)
	v_mov_b32_e32 v19, v18
	v_mov_b32_e32 v18, v22
.LBB1_207:                              ;   in Loop: Header=BB1_179 Depth=1
	s_or_b32 exec_lo, exec_lo, s0
	s_delay_alu instid0(VALU_DEP_1) | instskip(NEXT) | instid1(VALU_DEP_2)
	v_lshl_add_u32 v27, v19, 3, 0xf0
	v_lshl_add_u32 v18, v18, 3, 0xf0
	s_mov_b32 s0, 0
	s_mov_b32 s1, exec_lo
                                        ; implicit-def: $sgpr9
                                        ; implicit-def: $sgpr10
                                        ; implicit-def: $sgpr11
	s_delay_alu instid0(VALU_DEP_2) | instskip(NEXT) | instid1(VALU_DEP_2)
	v_add_nc_u32_e32 v19, 64, v27
	v_add_nc_u32_e32 v25, 64, v18
	s_clause 0x3
	scratch_load_b64 v[19:20], v19, off
	scratch_load_b64 v[21:22], v27, off
	scratch_load_b64 v[23:24], v18, off
	scratch_load_b64 v[25:26], v25, off
	v_add_nc_u32_e32 v27, 0x80, v27
	v_add_nc_u32_e32 v18, 0x80, v18
	s_clause 0x1
	scratch_load_b64 v[47:48], v27, off
	scratch_load_b64 v[49:50], v18, off
	s_waitcnt vmcnt(5)
	v_add_f64 v[18:19], v[19:20], -v[4:5]
	s_waitcnt vmcnt(4)
	v_add_f64 v[20:21], v[21:22], -v[0:1]
	;; [unrolled: 2-line block ×4, first 2 shown]
	s_delay_alu instid0(VALU_DEP_4) | instskip(NEXT) | instid1(VALU_DEP_4)
	v_mul_f64 v[45:46], v[30:31], v[18:19]
	v_mul_f64 v[26:27], v[32:33], v[20:21]
	s_delay_alu instid0(VALU_DEP_4) | instskip(NEXT) | instid1(VALU_DEP_4)
	v_mul_f64 v[43:44], v[32:33], v[22:23]
	v_mul_f64 v[18:19], v[30:31], v[24:25]
	s_waitcnt vmcnt(1)
	v_add_f64 v[20:21], v[47:48], -v[6:7]
	s_waitcnt vmcnt(0)
	v_add_f64 v[22:23], v[49:50], -v[6:7]
                                        ; implicit-def: $vgpr24_vgpr25
	ds_store_2addr_b64 v65, v[26:27], v[43:44] offset1:2
	ds_store_2addr_b64 v65, v[45:46], v[18:19] offset0:10 offset1:12
	ds_store_2addr_b64 v65, v[20:21], v[22:23] offset0:20 offset1:22
	v_cmpx_ngt_f64_e32 1.0, v[45:46]
	s_xor_b32 s1, exec_lo, s1
	s_cbranch_execz .LBB1_211
; %bb.208:                              ;   in Loop: Header=BB1_179 Depth=1
	s_mov_b32 s11, exec_lo
                                        ; implicit-def: $sgpr9
                                        ; implicit-def: $sgpr10
                                        ; implicit-def: $vgpr24_vgpr25
	v_cmpx_gt_f64_e32 1.0, v[18:19]
	s_xor_b32 s11, exec_lo, s11
	s_cbranch_execz .LBB1_210
; %bb.209:                              ;   in Loop: Header=BB1_179 Depth=1
	v_add_f64 v[24:25], v[45:46], -v[18:19]
	v_add_f64 v[45:46], -v[18:19], 1.0
	v_add_f64 v[26:27], v[26:27], -v[43:44]
	s_mov_b32 s0, exec_lo
	s_mov_b32 s10, 9
	s_mov_b32 s9, 8
	s_delay_alu instid0(VALU_DEP_2) | instskip(SKIP_1) | instid1(VALU_DEP_2)
	v_div_scale_f64 v[47:48], null, v[24:25], v[24:25], v[45:46]
	v_div_scale_f64 v[53:54], vcc_lo, v[45:46], v[24:25], v[45:46]
	v_rcp_f64_e32 v[49:50], v[47:48]
	s_waitcnt_depctr 0xfff
	v_fma_f64 v[51:52], -v[47:48], v[49:50], 1.0
	s_delay_alu instid0(VALU_DEP_1) | instskip(NEXT) | instid1(VALU_DEP_1)
	v_fma_f64 v[49:50], v[49:50], v[51:52], v[49:50]
	v_fma_f64 v[51:52], -v[47:48], v[49:50], 1.0
	s_delay_alu instid0(VALU_DEP_1) | instskip(NEXT) | instid1(VALU_DEP_1)
	v_fma_f64 v[49:50], v[49:50], v[51:52], v[49:50]
	v_mul_f64 v[51:52], v[53:54], v[49:50]
	s_delay_alu instid0(VALU_DEP_1) | instskip(NEXT) | instid1(VALU_DEP_1)
	v_fma_f64 v[47:48], -v[47:48], v[51:52], v[53:54]
	v_div_fmas_f64 v[47:48], v[47:48], v[49:50], v[51:52]
	s_delay_alu instid0(VALU_DEP_1) | instskip(NEXT) | instid1(VALU_DEP_1)
	v_div_fixup_f64 v[24:25], v[47:48], v[24:25], v[45:46]
	v_fma_f64 v[26:27], v[26:27], v[24:25], v[43:44]
	v_mov_b32_e32 v43, v78
	ds_store_2addr_b64 v65, v[26:27], v[42:43] offset0:9 offset1:19
.LBB1_210:                              ;   in Loop: Header=BB1_179 Depth=1
	s_or_b32 exec_lo, exec_lo, s11
	s_mov_b32 s11, 9
	s_and_b32 s0, s0, exec_lo
                                        ; implicit-def: $vgpr26_vgpr27
                                        ; implicit-def: $vgpr45_vgpr46
                                        ; implicit-def: $vgpr43_vgpr44
.LBB1_211:                              ;   in Loop: Header=BB1_179 Depth=1
	s_or_saveexec_b32 s1, s1
	v_dual_mov_b32 v48, s9 :: v_dual_mov_b32 v49, s10
	v_mov_b32_e32 v47, s11
	s_xor_b32 exec_lo, exec_lo, s1
	s_cbranch_execz .LBB1_215
; %bb.212:                              ;   in Loop: Header=BB1_179 Depth=1
	s_mov_b32 s9, s0
	s_mov_b32 s10, exec_lo
	ds_store_2addr_b64 v65, v[26:27], v[45:46] offset0:9 offset1:19
	ds_store_b64 v65, v[20:21] offset:232
                                        ; implicit-def: $sgpr14
                                        ; implicit-def: $sgpr11
                                        ; implicit-def: $vgpr24_vgpr25
	v_cmpx_le_f64_e32 1.0, v[18:19]
	s_cbranch_execz .LBB1_214
; %bb.213:                              ;   in Loop: Header=BB1_179 Depth=1
	v_add_f64 v[24:25], v[18:19], -v[45:46]
	v_add_f64 v[45:46], -v[45:46], 1.0
	v_add_f64 v[43:44], v[43:44], -v[26:27]
	s_mov_b32 s11, 8
	s_mov_b32 s14, 7
	s_or_b32 s9, s0, exec_lo
	s_delay_alu instid0(VALU_DEP_2) | instskip(SKIP_1) | instid1(VALU_DEP_2)
	v_div_scale_f64 v[47:48], null, v[24:25], v[24:25], v[45:46]
	v_div_scale_f64 v[53:54], vcc_lo, v[45:46], v[24:25], v[45:46]
	v_rcp_f64_e32 v[49:50], v[47:48]
	s_waitcnt_depctr 0xfff
	v_fma_f64 v[51:52], -v[47:48], v[49:50], 1.0
	s_delay_alu instid0(VALU_DEP_1) | instskip(NEXT) | instid1(VALU_DEP_1)
	v_fma_f64 v[49:50], v[49:50], v[51:52], v[49:50]
	v_fma_f64 v[51:52], -v[47:48], v[49:50], 1.0
	s_delay_alu instid0(VALU_DEP_1) | instskip(NEXT) | instid1(VALU_DEP_1)
	v_fma_f64 v[49:50], v[49:50], v[51:52], v[49:50]
	v_mul_f64 v[51:52], v[53:54], v[49:50]
	s_delay_alu instid0(VALU_DEP_1) | instskip(NEXT) | instid1(VALU_DEP_1)
	v_fma_f64 v[47:48], -v[47:48], v[51:52], v[53:54]
	v_div_fmas_f64 v[47:48], v[47:48], v[49:50], v[51:52]
	s_delay_alu instid0(VALU_DEP_1) | instskip(NEXT) | instid1(VALU_DEP_1)
	v_div_fixup_f64 v[24:25], v[47:48], v[24:25], v[45:46]
	v_fma_f64 v[26:27], v[43:44], v[24:25], v[26:27]
	v_mov_b32_e32 v43, v78
	ds_store_2addr_b64 v65, v[26:27], v[42:43] offset0:8 offset1:18
.LBB1_214:                              ;   in Loop: Header=BB1_179 Depth=1
	s_or_b32 exec_lo, exec_lo, s10
	v_dual_mov_b32 v27, v23 :: v_dual_mov_b32 v26, v22
	v_mov_b32_e32 v23, v21
	v_dual_mov_b32 v47, 8 :: v_dual_mov_b32 v22, v20
	v_dual_mov_b32 v48, s14 :: v_dual_mov_b32 v49, s11
	s_delay_alu instid0(VALU_DEP_4) | instskip(SKIP_2) | instid1(SALU_CYCLE_1)
	v_dual_mov_b32 v20, v26 :: v_dual_mov_b32 v21, v27
	s_and_not1_b32 s0, s0, exec_lo
	s_and_b32 s9, s9, exec_lo
	s_or_b32 s0, s0, s9
.LBB1_215:                              ;   in Loop: Header=BB1_179 Depth=1
	s_or_b32 exec_lo, exec_lo, s1
	s_and_saveexec_b32 s1, s0
	s_cbranch_execz .LBB1_217
; %bb.216:                              ;   in Loop: Header=BB1_179 Depth=1
	v_add_f64 v[20:21], v[20:21], -v[22:23]
	v_mov_b32_e32 v47, v48
	s_delay_alu instid0(VALU_DEP_2)
	v_fma_f64 v[20:21], v[24:25], v[20:21], v[22:23]
	v_lshl_add_u32 v22, v49, 3, v67
	ds_store_b64 v22, v[20:21]
.LBB1_217:                              ;   in Loop: Header=BB1_179 Depth=1
	s_or_b32 exec_lo, exec_lo, s1
	s_mov_b32 s0, 0
	s_mov_b32 s1, exec_lo
                                        ; implicit-def: $sgpr9
                                        ; implicit-def: $sgpr10
                                        ; implicit-def: $vgpr25
                                        ; implicit-def: $vgpr26
                                        ; implicit-def: $vgpr27
                                        ; implicit-def: $vgpr24
                                        ; implicit-def: $vgpr22_vgpr23
                                        ; implicit-def: $vgpr20_vgpr21
	v_cmpx_ngt_f64_e32 1.0, v[18:19]
	s_xor_b32 s1, exec_lo, s1
	s_cbranch_execz .LBB1_221
; %bb.218:                              ;   in Loop: Header=BB1_179 Depth=1
	s_mov_b32 s11, exec_lo
                                        ; implicit-def: $sgpr9
                                        ; implicit-def: $sgpr10
                                        ; implicit-def: $vgpr22_vgpr23
	v_cmpx_gt_f64_e32 1.0, v[16:17]
; %bb.219:                              ;   in Loop: Header=BB1_179 Depth=1
	v_add_f64 v[22:23], v[18:19], -v[16:17]
	s_mov_b32 s0, exec_lo
	s_mov_b32 s10, 2
	s_mov_b32 s9, -1
; %bb.220:                              ;   in Loop: Header=BB1_179 Depth=1
	s_or_b32 exec_lo, exec_lo, s11
	v_dual_mov_b32 v25, v69 :: v_dual_mov_b32 v26, v70
	v_dual_mov_b32 v27, v68 :: v_dual_mov_b32 v24, v47
	v_dual_mov_b32 v21, v17 :: v_dual_mov_b32 v20, v16
	s_and_b32 s0, s0, exec_lo
                                        ; implicit-def: $vgpr18_vgpr19
.LBB1_221:                              ;   in Loop: Header=BB1_179 Depth=1
	s_or_saveexec_b32 s1, s1
	v_dual_mov_b32 v44, s9 :: v_dual_mov_b32 v45, s10
	s_xor_b32 exec_lo, exec_lo, s1
	s_cbranch_execz .LBB1_225
; %bb.222:                              ;   in Loop: Header=BB1_179 Depth=1
	v_lshl_add_u32 v20, v47, 3, v65
	v_add_nc_u32_e32 v24, -1, v47
	s_mov_b32 s9, s0
	s_mov_b32 s14, exec_lo
                                        ; implicit-def: $sgpr11
                                        ; implicit-def: $sgpr10
                                        ; implicit-def: $vgpr22_vgpr23
	ds_store_b64 v20, v[18:19] offset:80
	ds_load_b64 v[16:17], v65 offset:16
	s_waitcnt lgkmcnt(0)
	ds_store_b64 v20, v[16:17]
	ds_load_b64 v[16:17], v65 offset:176
	s_waitcnt lgkmcnt(0)
	ds_store_b64 v20, v[16:17] offset:160
	ds_load_b64 v[20:21], v65 offset:88
                                        ; implicit-def: $vgpr16_vgpr17
	s_waitcnt lgkmcnt(0)
	v_cmpx_le_f64_e32 1.0, v[20:21]
	s_cbranch_execz .LBB1_224
; %bb.223:                              ;   in Loop: Header=BB1_179 Depth=1
	ds_load_b64 v[16:17], v65 offset:96
	s_mov_b32 s10, 1
	s_mov_b32 s11, -2
	s_or_b32 s9, s0, exec_lo
	s_waitcnt lgkmcnt(0)
	v_add_f64 v[22:23], v[20:21], -v[16:17]
                                        ; implicit-def: $vgpr20_vgpr21
.LBB1_224:                              ;   in Loop: Header=BB1_179 Depth=1
	s_or_b32 exec_lo, exec_lo, s14
	v_dual_mov_b32 v44, s11 :: v_dual_mov_b32 v45, s10
	v_dual_mov_b32 v25, v71 :: v_dual_mov_b32 v26, v68
	v_mov_b32_e32 v27, v70
	s_and_not1_b32 s0, s0, exec_lo
	s_and_b32 s9, s9, exec_lo
	s_delay_alu instid0(SALU_CYCLE_1)
	s_or_b32 s0, s0, s9
.LBB1_225:                              ;   in Loop: Header=BB1_179 Depth=1
	s_or_b32 exec_lo, exec_lo, s1
	s_and_saveexec_b32 s1, s0
	s_cbranch_execz .LBB1_227
; %bb.226:                              ;   in Loop: Header=BB1_179 Depth=1
	v_add_f64 v[16:17], -v[16:17], 1.0
	v_lshl_add_u32 v24, v24, 3, v65
	v_mov_b32_e32 v43, v78
	ds_store_b64 v24, v[42:43] offset:80
	v_div_scale_f64 v[18:19], null, v[22:23], v[22:23], v[16:17]
	v_div_scale_f64 v[50:51], vcc_lo, v[16:17], v[22:23], v[16:17]
	s_delay_alu instid0(VALU_DEP_2) | instskip(SKIP_2) | instid1(VALU_DEP_1)
	v_rcp_f64_e32 v[20:21], v[18:19]
	s_waitcnt_depctr 0xfff
	v_fma_f64 v[48:49], -v[18:19], v[20:21], 1.0
	v_fma_f64 v[20:21], v[20:21], v[48:49], v[20:21]
	s_delay_alu instid0(VALU_DEP_1) | instskip(NEXT) | instid1(VALU_DEP_1)
	v_fma_f64 v[48:49], -v[18:19], v[20:21], 1.0
	v_fma_f64 v[20:21], v[20:21], v[48:49], v[20:21]
	s_delay_alu instid0(VALU_DEP_1) | instskip(NEXT) | instid1(VALU_DEP_1)
	v_mul_f64 v[48:49], v[50:51], v[20:21]
	v_fma_f64 v[18:19], -v[18:19], v[48:49], v[50:51]
	s_delay_alu instid0(VALU_DEP_1)
	v_div_fmas_f64 v[18:19], v[18:19], v[20:21], v[48:49]
	ds_load_b64 v[20:21], v27
	ds_load_b64 v[26:27], v26
	s_waitcnt lgkmcnt(0)
	v_add_f64 v[26:27], v[26:27], -v[20:21]
	v_div_fixup_f64 v[16:17], v[18:19], v[22:23], v[16:17]
	s_delay_alu instid0(VALU_DEP_1)
	v_fma_f64 v[18:19], v[16:17], v[26:27], v[20:21]
	v_lshl_add_u32 v20, v45, 3, v67
	ds_store_b64 v24, v[18:19]
	ds_load_b64 v[18:19], v25
	ds_load_b64 v[20:21], v20
	s_waitcnt lgkmcnt(0)
	v_add_f64 v[20:21], v[20:21], -v[18:19]
	s_delay_alu instid0(VALU_DEP_1)
	v_fma_f64 v[16:17], v[16:17], v[20:21], v[18:19]
	ds_store_b64 v24, v[16:17] offset:160
	v_add_nc_u32_e32 v24, v44, v47
	ds_load_b64 v[20:21], v65 offset:88
.LBB1_227:                              ;   in Loop: Header=BB1_179 Depth=1
	s_or_b32 exec_lo, exec_lo, s1
	s_mov_b32 s0, 0
	s_mov_b32 s1, exec_lo
                                        ; implicit-def: $sgpr9
                                        ; implicit-def: $sgpr10
                                        ; implicit-def: $vgpr23
                                        ; implicit-def: $vgpr25
                                        ; implicit-def: $vgpr26
                                        ; implicit-def: $vgpr22
                                        ; implicit-def: $vgpr16_vgpr17
                                        ; implicit-def: $vgpr18_vgpr19
	s_waitcnt lgkmcnt(0)
	v_cmpx_ngt_f64_e32 1.0, v[20:21]
	s_xor_b32 s1, exec_lo, s1
	s_cbranch_execz .LBB1_231
; %bb.228:                              ;   in Loop: Header=BB1_179 Depth=1
	ds_load_b64 v[18:19], v66
	s_mov_b32 s11, exec_lo
                                        ; implicit-def: $sgpr9
                                        ; implicit-def: $sgpr10
                                        ; implicit-def: $vgpr16_vgpr17
	s_waitcnt lgkmcnt(0)
	v_cmpx_gt_f64_e32 1.0, v[18:19]
; %bb.229:                              ;   in Loop: Header=BB1_179 Depth=1
	v_add_f64 v[16:17], v[20:21], -v[18:19]
	s_mov_b32 s0, exec_lo
	s_mov_b32 s10, 1
	s_mov_b32 s9, -1
; %bb.230:                              ;   in Loop: Header=BB1_179 Depth=1
	s_or_b32 exec_lo, exec_lo, s11
	v_dual_mov_b32 v23, v67 :: v_dual_mov_b32 v26, v65
	v_mov_b32_e32 v25, v68
	v_mov_b32_e32 v22, v24
	s_and_b32 s0, s0, exec_lo
                                        ; implicit-def: $vgpr20_vgpr21
.LBB1_231:                              ;   in Loop: Header=BB1_179 Depth=1
	s_or_saveexec_b32 s1, s1
	v_dual_mov_b32 v27, s9 :: v_dual_mov_b32 v44, s10
	s_xor_b32 exec_lo, exec_lo, s1
	s_cbranch_execz .LBB1_235
; %bb.232:                              ;   in Loop: Header=BB1_179 Depth=1
	v_lshl_add_u32 v18, v24, 3, v65
	v_add_nc_u32_e32 v22, -1, v24
	s_mov_b32 s9, s0
	s_mov_b32 s14, exec_lo
                                        ; implicit-def: $sgpr11
                                        ; implicit-def: $sgpr10
	ds_store_b64 v18, v[20:21] offset:80
	ds_load_b64 v[16:17], v65 offset:8
	s_waitcnt lgkmcnt(0)
	ds_store_b64 v18, v[16:17]
	ds_load_b64 v[16:17], v65 offset:168
	s_waitcnt lgkmcnt(0)
	ds_store_b64 v18, v[16:17] offset:160
	ds_load_b64 v[20:21], v65 offset:80
                                        ; implicit-def: $vgpr16_vgpr17
                                        ; implicit-def: $vgpr18_vgpr19
	s_waitcnt lgkmcnt(0)
	v_cmpx_le_f64_e32 1.0, v[20:21]
	s_cbranch_execz .LBB1_234
; %bb.233:                              ;   in Loop: Header=BB1_179 Depth=1
	ds_load_b64 v[18:19], v65 offset:88
	s_mov_b32 s10, 0
	s_mov_b32 s11, -2
	s_or_b32 s9, s0, exec_lo
	s_waitcnt lgkmcnt(0)
	v_add_f64 v[16:17], v[20:21], -v[18:19]
.LBB1_234:                              ;   in Loop: Header=BB1_179 Depth=1
	s_or_b32 exec_lo, exec_lo, s14
	v_dual_mov_b32 v27, s11 :: v_dual_mov_b32 v44, s10
	v_dual_mov_b32 v23, v69 :: v_dual_mov_b32 v26, v68
	v_mov_b32_e32 v25, v65
	s_and_not1_b32 s0, s0, exec_lo
	s_and_b32 s9, s9, exec_lo
	s_delay_alu instid0(SALU_CYCLE_1)
	s_or_b32 s0, s0, s9
.LBB1_235:                              ;   in Loop: Header=BB1_179 Depth=1
	s_or_b32 exec_lo, exec_lo, s1
	s_and_saveexec_b32 s1, s0
	s_cbranch_execz .LBB1_237
; %bb.236:                              ;   in Loop: Header=BB1_179 Depth=1
	v_add_f64 v[18:19], -v[18:19], 1.0
	v_mov_b32_e32 v43, v78
	s_delay_alu instid0(VALU_DEP_2) | instskip(SKIP_1) | instid1(VALU_DEP_2)
	v_div_scale_f64 v[20:21], null, v[16:17], v[16:17], v[18:19]
	v_div_scale_f64 v[49:50], vcc_lo, v[18:19], v[16:17], v[18:19]
	v_rcp_f64_e32 v[45:46], v[20:21]
	s_waitcnt_depctr 0xfff
	v_fma_f64 v[47:48], -v[20:21], v[45:46], 1.0
	s_delay_alu instid0(VALU_DEP_1) | instskip(NEXT) | instid1(VALU_DEP_1)
	v_fma_f64 v[45:46], v[45:46], v[47:48], v[45:46]
	v_fma_f64 v[47:48], -v[20:21], v[45:46], 1.0
	s_delay_alu instid0(VALU_DEP_1) | instskip(NEXT) | instid1(VALU_DEP_1)
	v_fma_f64 v[45:46], v[45:46], v[47:48], v[45:46]
	v_mul_f64 v[47:48], v[49:50], v[45:46]
	s_delay_alu instid0(VALU_DEP_1) | instskip(NEXT) | instid1(VALU_DEP_1)
	v_fma_f64 v[20:21], -v[20:21], v[47:48], v[49:50]
	v_div_fmas_f64 v[20:21], v[20:21], v[45:46], v[47:48]
	v_lshl_add_u32 v47, v22, 3, v65
	v_add_nc_u32_e32 v22, v27, v24
	ds_store_b64 v47, v[42:43] offset:80
	ds_load_b64 v[45:46], v26
	ds_load_b64 v[25:26], v25
	s_waitcnt lgkmcnt(0)
	v_add_f64 v[25:26], v[25:26], -v[45:46]
	v_div_fixup_f64 v[16:17], v[20:21], v[16:17], v[18:19]
	v_lshl_add_u32 v20, v44, 3, v67
	s_delay_alu instid0(VALU_DEP_2)
	v_fma_f64 v[18:19], v[16:17], v[25:26], v[45:46]
	ds_store_b64 v47, v[18:19]
	ds_load_b64 v[18:19], v23
	ds_load_b64 v[20:21], v20
	s_waitcnt lgkmcnt(0)
	v_add_f64 v[20:21], v[20:21], -v[18:19]
	s_delay_alu instid0(VALU_DEP_1)
	v_fma_f64 v[16:17], v[16:17], v[20:21], v[18:19]
	ds_store_b64 v47, v[16:17] offset:160
.LBB1_237:                              ;   in Loop: Header=BB1_179 Depth=1
	s_or_b32 exec_lo, exec_lo, s1
	v_add_nc_u32_e32 v16, 1, v22
	v_mov_b32_e32 v44, 0
	s_mov_b32 s0, exec_lo
	s_delay_alu instid0(VALU_DEP_2)
	v_cmpx_ne_u32_e32 10, v16
	s_cbranch_execz .LBB1_251
; %bb.238:                              ;   in Loop: Header=BB1_179 Depth=1
	v_add_co_u32 v18, s1, v22, -9
	v_dual_mov_b32 v17, v42 :: v_dual_mov_b32 v20, 9
	v_lshl_add_u32 v27, v22, 3, v65
	v_add_co_ci_u32_e64 v19, null, 0, -1, s1
	v_dual_mov_b32 v21, 0 :: v_dual_mov_b32 v44, 0
	s_mov_b32 s1, 0
	s_branch .LBB1_240
.LBB1_239:                              ;   in Loop: Header=BB1_240 Depth=2
	s_or_b32 exec_lo, exec_lo, s10
	v_add_co_u32 v18, vcc_lo, v18, 1
	v_add_co_ci_u32_e32 v19, vcc_lo, 0, v19, vcc_lo
	v_add_co_u32 v22, vcc_lo, v16, 1
	v_add_co_ci_u32_e32 v23, vcc_lo, 0, v17, vcc_lo
	s_delay_alu instid0(VALU_DEP_3) | instskip(SKIP_2) | instid1(VALU_DEP_4)
	v_cmp_eq_u64_e32 vcc_lo, 0, v[18:19]
	v_mov_b32_e32 v21, v17
	v_dual_mov_b32 v20, v16 :: v_dual_add_nc_u32 v27, 8, v27
	v_dual_mov_b32 v16, v22 :: v_dual_mov_b32 v17, v23
	s_or_b32 s1, vcc_lo, s1
	s_delay_alu instid0(SALU_CYCLE_1)
	s_and_not1_b32 exec_lo, exec_lo, s1
	s_cbranch_execz .LBB1_250
.LBB1_240:                              ;   Parent Loop BB1_179 Depth=1
                                        ; =>  This Inner Loop Header: Depth=2
	v_lshl_add_u32 v45, v20, 3, v65
	s_mov_b32 s9, 0
	s_mov_b32 s10, exec_lo
                                        ; implicit-def: $vgpr25
                                        ; implicit-def: $vgpr21_vgpr22
                                        ; implicit-def: $vgpr43
	ds_load_b64 v[23:24], v45 offset:80
	s_waitcnt lgkmcnt(0)
	v_cmpx_le_f64_e32 0, v[23:24]
	s_xor_b32 s10, exec_lo, s10
	s_cbranch_execnz .LBB1_243
; %bb.241:                              ;   in Loop: Header=BB1_240 Depth=2
	s_and_not1_saveexec_b32 s10, s10
	s_cbranch_execnz .LBB1_246
.LBB1_242:                              ;   in Loop: Header=BB1_240 Depth=2
	s_or_b32 exec_lo, exec_lo, s10
	s_and_saveexec_b32 s10, s9
	s_cbranch_execz .LBB1_239
	s_branch .LBB1_249
.LBB1_243:                              ;   in Loop: Header=BB1_240 Depth=2
	v_lshl_add_u32 v26, v44, 3, v65
	v_add_nc_u32_e32 v25, 1, v44
	s_mov_b32 s11, exec_lo
                                        ; implicit-def: $vgpr43
	ds_store_b64 v26, v[23:24] offset:80
	ds_load_b64 v[20:21], v45
	s_waitcnt lgkmcnt(0)
	ds_store_b64 v26, v[20:21]
	ds_load_b64 v[20:21], v45 offset:160
	s_waitcnt lgkmcnt(0)
	ds_store_b64 v26, v[20:21] offset:160
	ds_load_b64 v[23:24], v27 offset:88
                                        ; implicit-def: $vgpr21_vgpr22
                                        ; implicit-def: $vgpr20
	s_waitcnt lgkmcnt(0)
	v_cmpx_gt_f64_e32 0, v[23:24]
	s_cbranch_execz .LBB1_245
; %bb.244:                              ;   in Loop: Header=BB1_240 Depth=2
	ds_load_b64 v[20:21], v45 offset:80
	v_add_f64 v[46:47], -v[23:24], 0
	v_mov_b32_e32 v43, v42
	s_mov_b32 s9, exec_lo
	s_waitcnt lgkmcnt(0)
	v_add_f64 v[20:21], v[20:21], -v[23:24]
	v_lshl_add_u32 v24, v44, 3, v72
	s_delay_alu instid0(VALU_DEP_2) | instskip(SKIP_1) | instid1(VALU_DEP_2)
	v_div_scale_f64 v[22:23], null, v[20:21], v[20:21], v[46:47]
	v_div_scale_f64 v[52:53], vcc_lo, v[46:47], v[20:21], v[46:47]
	v_rcp_f64_e32 v[48:49], v[22:23]
	s_waitcnt_depctr 0xfff
	v_fma_f64 v[50:51], -v[22:23], v[48:49], 1.0
	s_delay_alu instid0(VALU_DEP_1) | instskip(NEXT) | instid1(VALU_DEP_1)
	v_fma_f64 v[48:49], v[48:49], v[50:51], v[48:49]
	v_fma_f64 v[50:51], -v[22:23], v[48:49], 1.0
	s_delay_alu instid0(VALU_DEP_1) | instskip(NEXT) | instid1(VALU_DEP_1)
	v_fma_f64 v[48:49], v[48:49], v[50:51], v[48:49]
	v_mul_f64 v[50:51], v[52:53], v[48:49]
	s_delay_alu instid0(VALU_DEP_1) | instskip(NEXT) | instid1(VALU_DEP_1)
	v_fma_f64 v[22:23], -v[22:23], v[50:51], v[52:53]
	v_div_fmas_f64 v[22:23], v[22:23], v[48:49], v[50:51]
	s_delay_alu instid0(VALU_DEP_1)
	v_div_fixup_f64 v[21:22], v[22:23], v[20:21], v[46:47]
	v_add_nc_u32_e32 v20, 10, v18
	ds_store_b64 v24, v[42:43]
	ds_load_b64 v[43:44], v27 offset:8
	ds_load_b64 v[48:49], v45
	s_waitcnt lgkmcnt(0)
	v_add_f64 v[23:24], v[48:49], -v[43:44]
	s_delay_alu instid0(VALU_DEP_1)
	v_fma_f64 v[23:24], v[21:22], v[23:24], v[43:44]
	v_add_nc_u32_e32 v43, 0xa0, v45
	ds_store_b64 v26, v[23:24] offset:8
.LBB1_245:                              ;   in Loop: Header=BB1_240 Depth=2
	s_or_b32 exec_lo, exec_lo, s11
	v_mov_b32_e32 v44, v25
	s_and_b32 s9, s9, exec_lo
                                        ; implicit-def: $vgpr23_vgpr24
                                        ; implicit-def: $vgpr45
	s_and_not1_saveexec_b32 s10, s10
	s_cbranch_execz .LBB1_242
.LBB1_246:                              ;   in Loop: Header=BB1_240 Depth=2
	ds_load_b64 v[25:26], v27 offset:88
	s_mov_b32 s14, s9
	s_mov_b32 s11, exec_lo
                                        ; implicit-def: $vgpr21_vgpr22
                                        ; implicit-def: $vgpr43
	s_waitcnt lgkmcnt(0)
	v_cmpx_le_f64_e32 0, v[25:26]
	s_cbranch_execz .LBB1_248
; %bb.247:                              ;   in Loop: Header=BB1_240 Depth=2
	v_add_f64 v[21:22], v[25:26], -v[23:24]
	v_add_f64 v[23:24], -v[23:24], 0
	v_mov_b32_e32 v43, v42
	s_or_b32 s14, s9, exec_lo
	s_delay_alu instid0(VALU_DEP_2) | instskip(SKIP_1) | instid1(VALU_DEP_2)
	v_div_scale_f64 v[25:26], null, v[21:22], v[21:22], v[23:24]
	v_div_scale_f64 v[50:51], vcc_lo, v[23:24], v[21:22], v[23:24]
	v_rcp_f64_e32 v[46:47], v[25:26]
	s_waitcnt_depctr 0xfff
	v_fma_f64 v[48:49], -v[25:26], v[46:47], 1.0
	s_delay_alu instid0(VALU_DEP_1) | instskip(NEXT) | instid1(VALU_DEP_1)
	v_fma_f64 v[46:47], v[46:47], v[48:49], v[46:47]
	v_fma_f64 v[48:49], -v[25:26], v[46:47], 1.0
	s_delay_alu instid0(VALU_DEP_1) | instskip(NEXT) | instid1(VALU_DEP_1)
	v_fma_f64 v[46:47], v[46:47], v[48:49], v[46:47]
	v_mul_f64 v[48:49], v[50:51], v[46:47]
	s_delay_alu instid0(VALU_DEP_1) | instskip(NEXT) | instid1(VALU_DEP_1)
	v_fma_f64 v[25:26], -v[25:26], v[48:49], v[50:51]
	v_div_fmas_f64 v[25:26], v[25:26], v[46:47], v[48:49]
	v_lshl_add_u32 v49, v44, 3, v65
	ds_store_b64 v49, v[42:43] offset:80
	ds_load_b64 v[45:46], v45
	ds_load_b64 v[47:48], v27 offset:8
	v_add_nc_u32_e32 v43, 0xa8, v27
	v_div_fixup_f64 v[21:22], v[25:26], v[21:22], v[23:24]
	s_waitcnt lgkmcnt(0)
	v_add_f64 v[23:24], v[47:48], -v[45:46]
	s_delay_alu instid0(VALU_DEP_1)
	v_fma_f64 v[23:24], v[21:22], v[23:24], v[45:46]
	ds_store_b64 v49, v[23:24]
.LBB1_248:                              ;   in Loop: Header=BB1_240 Depth=2
	s_or_b32 exec_lo, exec_lo, s11
	v_mov_b32_e32 v25, v44
	s_and_not1_b32 s9, s9, exec_lo
	s_and_b32 s11, s14, exec_lo
	s_delay_alu instid0(SALU_CYCLE_1)
	s_or_b32 s9, s9, s11
	s_or_b32 exec_lo, exec_lo, s10
	s_and_saveexec_b32 s10, s9
	s_cbranch_execz .LBB1_239
.LBB1_249:                              ;   in Loop: Header=BB1_240 Depth=2
	v_lshl_add_u32 v20, v20, 3, v67
	ds_load_b64 v[23:24], v20
	ds_load_b64 v[43:44], v43
	s_waitcnt lgkmcnt(0)
	v_add_f64 v[43:44], v[43:44], -v[23:24]
	s_delay_alu instid0(VALU_DEP_1)
	v_fma_f64 v[20:21], v[21:22], v[43:44], v[23:24]
	v_lshl_add_u32 v22, v25, 3, v67
	v_add_nc_u32_e32 v44, 1, v25
	ds_store_b64 v22, v[20:21]
	s_branch .LBB1_239
.LBB1_250:                              ;   in Loop: Header=BB1_179 Depth=1
	s_or_b32 exec_lo, exec_lo, s1
.LBB1_251:                              ;   in Loop: Header=BB1_179 Depth=1
	s_delay_alu instid0(SALU_CYCLE_1)
	s_or_b32 exec_lo, exec_lo, s0
	v_mov_b32_e32 v17, 0
	s_mov_b32 s1, 0
	s_mov_b32 s0, exec_lo
	v_cmpx_ne_u32_e32 0, v44
	s_cbranch_execz .LBB1_265
; %bb.252:                              ;   in Loop: Header=BB1_179 Depth=1
	v_add_nc_u32_e32 v16, -1, v44
	v_mov_b32_e32 v20, 0
	v_mov_b32_e32 v21, 0
	v_lshl_add_u32 v27, v44, 3, v73
	v_mov_b32_e32 v44, 9
	v_ashrrev_i32_e32 v17, 31, v16
	v_add_co_u32 v18, vcc_lo, v16, 1
	s_delay_alu instid0(VALU_DEP_2)
	v_add_co_ci_u32_e32 v19, vcc_lo, 0, v17, vcc_lo
	s_branch .LBB1_254
.LBB1_253:                              ;   in Loop: Header=BB1_254 Depth=2
	s_or_b32 exec_lo, exec_lo, s10
	v_add_co_u32 v18, vcc_lo, v18, -1
	v_add_co_ci_u32_e32 v19, vcc_lo, -1, v19, vcc_lo
	v_add_co_u32 v22, vcc_lo, v16, -1
	v_add_co_ci_u32_e32 v23, vcc_lo, -1, v17, vcc_lo
	s_delay_alu instid0(VALU_DEP_3)
	v_cmp_eq_u64_e32 vcc_lo, 0, v[18:19]
	v_mov_b32_e32 v21, v17
	v_dual_mov_b32 v20, v16 :: v_dual_add_nc_u32 v27, -8, v27
	v_mov_b32_e32 v16, v22
	v_dual_mov_b32 v44, v25 :: v_dual_mov_b32 v17, v23
	s_or_b32 s1, vcc_lo, s1
	s_delay_alu instid0(SALU_CYCLE_1)
	s_and_not1_b32 exec_lo, exec_lo, s1
	s_cbranch_execz .LBB1_264
.LBB1_254:                              ;   Parent Loop BB1_179 Depth=1
                                        ; =>  This Inner Loop Header: Depth=2
	v_lshl_add_u32 v45, v20, 3, v65
	v_add_nc_u32_e32 v43, 0xffffff60, v27
	s_mov_b32 s9, 0
	s_mov_b32 s10, exec_lo
                                        ; implicit-def: $sgpr11
                                        ; implicit-def: $vgpr25
                                        ; implicit-def: $vgpr21_vgpr22
                                        ; implicit-def: $vgpr26
	ds_load_b64 v[23:24], v45
	s_waitcnt lgkmcnt(0)
	v_cmpx_ngt_f64_e32 1.0, v[23:24]
	s_xor_b32 s10, exec_lo, s10
	s_cbranch_execnz .LBB1_257
; %bb.255:                              ;   in Loop: Header=BB1_254 Depth=2
	s_or_saveexec_b32 s10, s10
	v_mov_b32_e32 v46, s11
	s_xor_b32 exec_lo, exec_lo, s10
	s_cbranch_execnz .LBB1_260
.LBB1_256:                              ;   in Loop: Header=BB1_254 Depth=2
	s_or_b32 exec_lo, exec_lo, s10
	s_and_saveexec_b32 s10, s9
	s_cbranch_execz .LBB1_253
	s_branch .LBB1_263
.LBB1_257:                              ;   in Loop: Header=BB1_254 Depth=2
	ds_load_b64 v[25:26], v43
	s_mov_b32 s14, exec_lo
                                        ; implicit-def: $sgpr11
                                        ; implicit-def: $vgpr21_vgpr22
	s_waitcnt lgkmcnt(0)
	v_cmpx_gt_f64_e32 1.0, v[25:26]
	s_xor_b32 s14, exec_lo, s14
	s_cbranch_execz .LBB1_259
; %bb.258:                              ;   in Loop: Header=BB1_254 Depth=2
	v_add_f64 v[21:22], v[23:24], -v[25:26]
	v_add_f64 v[23:24], -v[25:26], 1.0
	v_mov_b32_e32 v43, v78
	s_mov_b32 s9, exec_lo
	s_mov_b32 s11, -1
	s_delay_alu instid0(VALU_DEP_2) | instskip(SKIP_1) | instid1(VALU_DEP_2)
	v_div_scale_f64 v[25:26], null, v[21:22], v[21:22], v[23:24]
	v_div_scale_f64 v[50:51], vcc_lo, v[23:24], v[21:22], v[23:24]
	v_rcp_f64_e32 v[46:47], v[25:26]
	s_waitcnt_depctr 0xfff
	v_fma_f64 v[48:49], -v[25:26], v[46:47], 1.0
	s_delay_alu instid0(VALU_DEP_1) | instskip(NEXT) | instid1(VALU_DEP_1)
	v_fma_f64 v[46:47], v[46:47], v[48:49], v[46:47]
	v_fma_f64 v[48:49], -v[25:26], v[46:47], 1.0
	s_delay_alu instid0(VALU_DEP_1) | instskip(NEXT) | instid1(VALU_DEP_1)
	v_fma_f64 v[46:47], v[46:47], v[48:49], v[46:47]
	v_mul_f64 v[48:49], v[50:51], v[46:47]
	s_delay_alu instid0(VALU_DEP_1) | instskip(SKIP_1) | instid1(VALU_DEP_2)
	v_fma_f64 v[25:26], -v[25:26], v[48:49], v[50:51]
	v_lshl_add_u32 v50, v44, 3, v65
	v_div_fmas_f64 v[25:26], v[25:26], v[46:47], v[48:49]
	v_add_nc_u32_e32 v46, 0xffffffb0, v27
	ds_store_b64 v50, v[42:43]
	ds_load_b64 v[46:47], v46
	ds_load_b64 v[48:49], v45 offset:80
	v_div_fixup_f64 v[21:22], v[25:26], v[21:22], v[23:24]
	s_waitcnt lgkmcnt(0)
	v_add_f64 v[23:24], v[48:49], -v[46:47]
	s_delay_alu instid0(VALU_DEP_1)
	v_fma_f64 v[23:24], v[21:22], v[23:24], v[46:47]
	ds_store_b64 v50, v[23:24] offset:80
.LBB1_259:                              ;   in Loop: Header=BB1_254 Depth=2
	s_or_b32 exec_lo, exec_lo, s14
	v_dual_mov_b32 v25, v44 :: v_dual_mov_b32 v26, v27
	s_and_b32 s9, s9, exec_lo
                                        ; implicit-def: $vgpr23_vgpr24
                                        ; implicit-def: $vgpr45
                                        ; implicit-def: $vgpr43
	s_or_saveexec_b32 s10, s10
	v_mov_b32_e32 v46, s11
	s_xor_b32 exec_lo, exec_lo, s10
	s_cbranch_execz .LBB1_256
.LBB1_260:                              ;   in Loop: Header=BB1_254 Depth=2
	v_lshl_add_u32 v46, v44, 3, v65
	v_add_nc_u32_e32 v25, -1, v44
	s_mov_b32 s14, s9
	s_mov_b32 s11, exec_lo
                                        ; implicit-def: $sgpr15
                                        ; implicit-def: $vgpr26
	ds_store_b64 v46, v[23:24]
	ds_load_b64 v[20:21], v45 offset:80
	s_waitcnt lgkmcnt(0)
	ds_store_b64 v46, v[20:21] offset:80
	ds_load_b64 v[20:21], v45 offset:160
	s_waitcnt lgkmcnt(0)
	ds_store_b64 v46, v[20:21] offset:160
	ds_load_b64 v[23:24], v43
                                        ; implicit-def: $vgpr21_vgpr22
                                        ; implicit-def: $vgpr20
	s_waitcnt lgkmcnt(0)
	v_cmpx_le_f64_e32 1.0, v[23:24]
	s_cbranch_execz .LBB1_262
; %bb.261:                              ;   in Loop: Header=BB1_254 Depth=2
	ds_load_b64 v[20:21], v45
	v_add_nc_u32_e32 v26, 0xffffffb0, v27
	s_mov_b32 s15, -2
	s_or_b32 s14, s9, exec_lo
	v_mov_b32_e32 v43, v78
	s_waitcnt lgkmcnt(0)
	v_add_f64 v[22:23], v[23:24], -v[20:21]
	v_add_f64 v[20:21], -v[20:21], 1.0
	v_add_nc_u32_e32 v24, -8, v46
	ds_store_b64 v24, v[42:43]
	v_div_scale_f64 v[47:48], null, v[22:23], v[22:23], v[20:21]
	v_div_scale_f64 v[53:54], vcc_lo, v[20:21], v[22:23], v[20:21]
	s_delay_alu instid0(VALU_DEP_2) | instskip(SKIP_2) | instid1(VALU_DEP_1)
	v_rcp_f64_e32 v[49:50], v[47:48]
	s_waitcnt_depctr 0xfff
	v_fma_f64 v[51:52], -v[47:48], v[49:50], 1.0
	v_fma_f64 v[49:50], v[49:50], v[51:52], v[49:50]
	s_delay_alu instid0(VALU_DEP_1) | instskip(NEXT) | instid1(VALU_DEP_1)
	v_fma_f64 v[51:52], -v[47:48], v[49:50], 1.0
	v_fma_f64 v[49:50], v[49:50], v[51:52], v[49:50]
	s_delay_alu instid0(VALU_DEP_1) | instskip(NEXT) | instid1(VALU_DEP_1)
	v_mul_f64 v[51:52], v[53:54], v[49:50]
	v_fma_f64 v[47:48], -v[47:48], v[51:52], v[53:54]
	s_delay_alu instid0(VALU_DEP_1)
	v_div_fmas_f64 v[47:48], v[47:48], v[49:50], v[51:52]
	ds_load_b64 v[49:50], v45 offset:80
	ds_load_b64 v[51:52], v26
	v_add_nc_u32_e32 v26, 0xa0, v45
	v_div_fixup_f64 v[21:22], v[47:48], v[22:23], v[20:21]
	s_waitcnt lgkmcnt(0)
	v_add_f64 v[23:24], v[51:52], -v[49:50]
	v_mov_b32_e32 v20, v16
	s_delay_alu instid0(VALU_DEP_2)
	v_fma_f64 v[23:24], v[21:22], v[23:24], v[49:50]
	ds_store_b64 v46, v[23:24] offset:72
.LBB1_262:                              ;   in Loop: Header=BB1_254 Depth=2
	s_or_b32 exec_lo, exec_lo, s11
	v_mov_b32_e32 v46, s15
	s_and_not1_b32 s9, s9, exec_lo
	s_and_b32 s11, s14, exec_lo
	s_delay_alu instid0(SALU_CYCLE_1)
	s_or_b32 s9, s9, s11
	s_or_b32 exec_lo, exec_lo, s10
	s_and_saveexec_b32 s10, s9
	s_cbranch_execz .LBB1_253
.LBB1_263:                              ;   in Loop: Header=BB1_254 Depth=2
	v_lshl_add_u32 v20, v20, 3, v67
	ds_load_b64 v[23:24], v26
	ds_load_b64 v[47:48], v20
	s_waitcnt lgkmcnt(0)
	v_add_f64 v[47:48], v[47:48], -v[23:24]
	s_delay_alu instid0(VALU_DEP_1)
	v_fma_f64 v[20:21], v[21:22], v[47:48], v[23:24]
	v_lshl_add_u32 v22, v25, 3, v67
	v_add_nc_u32_e32 v25, v46, v44
	ds_store_b64 v22, v[20:21]
	s_branch .LBB1_253
.LBB1_264:                              ;   in Loop: Header=BB1_179 Depth=1
	s_or_b32 exec_lo, exec_lo, s1
	v_add_nc_u32_e32 v17, -9, v25
.LBB1_265:                              ;   in Loop: Header=BB1_179 Depth=1
	s_or_b32 exec_lo, exec_lo, s0
	v_mov_b32_e32 v24, 0
	s_mov_b32 s1, 0
	s_mov_b32 s0, exec_lo
	v_cmpx_ne_u32_e32 0, v17
	s_cbranch_execz .LBB1_279
; %bb.266:                              ;   in Loop: Header=BB1_179 Depth=1
	v_add_nc_u32_e32 v16, 10, v17
	v_mov_b32_e32 v20, 9
	v_mov_b32_e32 v21, 0
	v_lshl_add_u32 v23, v17, 3, v65
	v_mov_b32_e32 v24, 0
	v_ashrrev_i32_e32 v17, 31, v16
	v_add_co_u32 v18, vcc_lo, v16, -10
	s_delay_alu instid0(VALU_DEP_2)
	v_add_co_ci_u32_e32 v19, vcc_lo, -1, v17, vcc_lo
	s_branch .LBB1_268
.LBB1_267:                              ;   in Loop: Header=BB1_268 Depth=2
	s_or_b32 exec_lo, exec_lo, s10
	v_add_co_u32 v18, vcc_lo, v18, 1
	v_add_co_ci_u32_e32 v19, vcc_lo, 0, v19, vcc_lo
	v_add_co_u32 v25, vcc_lo, v16, 1
	v_add_co_ci_u32_e32 v26, vcc_lo, 0, v17, vcc_lo
	s_delay_alu instid0(VALU_DEP_3) | instskip(SKIP_2) | instid1(VALU_DEP_4)
	v_cmp_eq_u64_e32 vcc_lo, 0, v[18:19]
	v_mov_b32_e32 v21, v17
	v_dual_mov_b32 v20, v16 :: v_dual_add_nc_u32 v23, 8, v23
	v_dual_mov_b32 v16, v25 :: v_dual_mov_b32 v17, v26
	s_or_b32 s1, vcc_lo, s1
	s_delay_alu instid0(SALU_CYCLE_1)
	s_and_not1_b32 exec_lo, exec_lo, s1
	s_cbranch_execz .LBB1_278
.LBB1_268:                              ;   Parent Loop BB1_179 Depth=1
                                        ; =>  This Inner Loop Header: Depth=2
	v_lshl_add_u32 v45, v20, 3, v65
	s_mov_b32 s9, 0
	s_mov_b32 s10, exec_lo
                                        ; implicit-def: $vgpr27
                                        ; implicit-def: $vgpr21_vgpr22
                                        ; implicit-def: $vgpr46
	ds_load_b64 v[25:26], v45
	s_waitcnt lgkmcnt(0)
	v_cmpx_le_f64_e32 0, v[25:26]
	s_xor_b32 s10, exec_lo, s10
	s_cbranch_execnz .LBB1_271
; %bb.269:                              ;   in Loop: Header=BB1_268 Depth=2
	s_and_not1_saveexec_b32 s10, s10
	s_cbranch_execnz .LBB1_274
.LBB1_270:                              ;   in Loop: Header=BB1_268 Depth=2
	s_or_b32 exec_lo, exec_lo, s10
	s_and_saveexec_b32 s10, s9
	s_cbranch_execz .LBB1_267
	s_branch .LBB1_277
.LBB1_271:                              ;   in Loop: Header=BB1_268 Depth=2
	v_lshl_add_u32 v44, v24, 3, v65
	v_add_nc_u32_e32 v27, 1, v24
	s_mov_b32 s11, exec_lo
                                        ; implicit-def: $vgpr46
	ds_store_b64 v44, v[25:26]
	ds_load_b64 v[20:21], v45 offset:80
	s_waitcnt lgkmcnt(0)
	ds_store_b64 v44, v[20:21] offset:80
	ds_load_b64 v[20:21], v45 offset:160
	s_waitcnt lgkmcnt(0)
	ds_store_b64 v44, v[20:21] offset:160
	ds_load_b64 v[25:26], v23 offset:80
                                        ; implicit-def: $vgpr21_vgpr22
                                        ; implicit-def: $vgpr20
	s_waitcnt lgkmcnt(0)
	v_cmpx_gt_f64_e32 0, v[25:26]
	s_cbranch_execz .LBB1_273
; %bb.272:                              ;   in Loop: Header=BB1_268 Depth=2
	ds_load_b64 v[20:21], v45
	v_add_f64 v[46:47], -v[25:26], 0
	v_mov_b32_e32 v43, v42
	v_lshl_add_u32 v24, v24, 3, v72
	s_mov_b32 s9, exec_lo
	s_waitcnt lgkmcnt(0)
	v_add_f64 v[20:21], v[20:21], -v[25:26]
	s_delay_alu instid0(VALU_DEP_1) | instskip(SKIP_1) | instid1(VALU_DEP_2)
	v_div_scale_f64 v[25:26], null, v[20:21], v[20:21], v[46:47]
	v_div_scale_f64 v[52:53], vcc_lo, v[46:47], v[20:21], v[46:47]
	v_rcp_f64_e32 v[48:49], v[25:26]
	s_waitcnt_depctr 0xfff
	v_fma_f64 v[50:51], -v[25:26], v[48:49], 1.0
	s_delay_alu instid0(VALU_DEP_1) | instskip(NEXT) | instid1(VALU_DEP_1)
	v_fma_f64 v[48:49], v[48:49], v[50:51], v[48:49]
	v_fma_f64 v[50:51], -v[25:26], v[48:49], 1.0
	s_delay_alu instid0(VALU_DEP_1) | instskip(NEXT) | instid1(VALU_DEP_1)
	v_fma_f64 v[48:49], v[48:49], v[50:51], v[48:49]
	v_mul_f64 v[50:51], v[52:53], v[48:49]
	s_delay_alu instid0(VALU_DEP_1) | instskip(NEXT) | instid1(VALU_DEP_1)
	v_fma_f64 v[25:26], -v[25:26], v[50:51], v[52:53]
	v_div_fmas_f64 v[25:26], v[25:26], v[48:49], v[50:51]
	s_delay_alu instid0(VALU_DEP_1)
	v_div_fixup_f64 v[21:22], v[25:26], v[20:21], v[46:47]
	v_add_nc_u32_e32 v46, 0xa0, v45
	ds_store_b64 v44, v[42:43] offset:8
	ds_load_b64 v[43:44], v23 offset:160
	ds_load_b64 v[48:49], v45 offset:80
	v_mov_b32_e32 v20, v16
	s_waitcnt lgkmcnt(0)
	v_add_f64 v[25:26], v[48:49], -v[43:44]
	s_delay_alu instid0(VALU_DEP_1)
	v_fma_f64 v[25:26], v[21:22], v[25:26], v[43:44]
	ds_store_b64 v24, v[25:26]
.LBB1_273:                              ;   in Loop: Header=BB1_268 Depth=2
	s_or_b32 exec_lo, exec_lo, s11
	v_mov_b32_e32 v24, v27
	s_and_b32 s9, s9, exec_lo
                                        ; implicit-def: $vgpr25_vgpr26
                                        ; implicit-def: $vgpr45
	s_and_not1_saveexec_b32 s10, s10
	s_cbranch_execz .LBB1_270
.LBB1_274:                              ;   in Loop: Header=BB1_268 Depth=2
	ds_load_b64 v[43:44], v23 offset:80
	s_mov_b32 s14, s9
	s_mov_b32 s11, exec_lo
                                        ; implicit-def: $vgpr21_vgpr22
                                        ; implicit-def: $vgpr46
	s_waitcnt lgkmcnt(0)
	v_cmpx_le_f64_e32 0, v[43:44]
	s_cbranch_execz .LBB1_276
; %bb.275:                              ;   in Loop: Header=BB1_268 Depth=2
	v_add_f64 v[21:22], v[43:44], -v[25:26]
	v_add_f64 v[25:26], -v[25:26], 0
	v_lshl_add_u32 v27, v24, 3, v65
	s_or_b32 s14, s9, exec_lo
	s_delay_alu instid0(VALU_DEP_2) | instskip(SKIP_1) | instid1(VALU_DEP_2)
	v_div_scale_f64 v[43:44], null, v[21:22], v[21:22], v[25:26]
	v_div_scale_f64 v[50:51], vcc_lo, v[25:26], v[21:22], v[25:26]
	v_rcp_f64_e32 v[46:47], v[43:44]
	s_waitcnt_depctr 0xfff
	v_fma_f64 v[48:49], -v[43:44], v[46:47], 1.0
	s_delay_alu instid0(VALU_DEP_1) | instskip(NEXT) | instid1(VALU_DEP_1)
	v_fma_f64 v[46:47], v[46:47], v[48:49], v[46:47]
	v_fma_f64 v[48:49], -v[43:44], v[46:47], 1.0
	s_delay_alu instid0(VALU_DEP_1) | instskip(NEXT) | instid1(VALU_DEP_1)
	v_fma_f64 v[46:47], v[46:47], v[48:49], v[46:47]
	v_mul_f64 v[48:49], v[50:51], v[46:47]
	s_delay_alu instid0(VALU_DEP_1) | instskip(NEXT) | instid1(VALU_DEP_1)
	v_fma_f64 v[43:44], -v[43:44], v[48:49], v[50:51]
	v_div_fmas_f64 v[46:47], v[43:44], v[46:47], v[48:49]
	v_mov_b32_e32 v43, v42
	s_delay_alu instid0(VALU_DEP_2)
	v_div_fixup_f64 v[21:22], v[46:47], v[21:22], v[25:26]
	v_add_nc_u32_e32 v46, 0xf0, v23
	ds_store_b64 v27, v[42:43]
	ds_load_b64 v[43:44], v45 offset:80
	ds_load_b64 v[48:49], v23 offset:160
	s_waitcnt lgkmcnt(0)
	v_add_f64 v[25:26], v[48:49], -v[43:44]
	s_delay_alu instid0(VALU_DEP_1)
	v_fma_f64 v[25:26], v[21:22], v[25:26], v[43:44]
	ds_store_b64 v27, v[25:26] offset:80
.LBB1_276:                              ;   in Loop: Header=BB1_268 Depth=2
	s_or_b32 exec_lo, exec_lo, s11
	v_mov_b32_e32 v27, v24
	s_and_not1_b32 s9, s9, exec_lo
	s_and_b32 s11, s14, exec_lo
	s_delay_alu instid0(SALU_CYCLE_1)
	s_or_b32 s9, s9, s11
	s_or_b32 exec_lo, exec_lo, s10
	s_and_saveexec_b32 s10, s9
	s_cbranch_execz .LBB1_267
.LBB1_277:                              ;   in Loop: Header=BB1_268 Depth=2
	v_lshl_add_u32 v20, v20, 3, v67
	ds_load_b64 v[24:25], v20
	ds_load_b64 v[43:44], v46
	s_waitcnt lgkmcnt(0)
	v_add_f64 v[43:44], v[43:44], -v[24:25]
	s_delay_alu instid0(VALU_DEP_1)
	v_fma_f64 v[20:21], v[21:22], v[43:44], v[24:25]
	v_lshl_add_u32 v22, v27, 3, v67
	v_add_nc_u32_e32 v24, 1, v27
	ds_store_b64 v22, v[20:21]
	s_branch .LBB1_267
.LBB1_278:                              ;   in Loop: Header=BB1_179 Depth=1
	s_or_b32 exec_lo, exec_lo, s1
.LBB1_279:                              ;   in Loop: Header=BB1_179 Depth=1
	s_delay_alu instid0(SALU_CYCLE_1) | instskip(SKIP_2) | instid1(VALU_DEP_1)
	s_or_b32 exec_lo, exec_lo, s0
	v_ashrrev_i32_e32 v25, 31, v24
	v_cmp_lt_i32_e64 s0, 0, v24
	s_and_saveexec_b32 s1, s0
	s_cbranch_execz .LBB1_282
; %bb.280:                              ;   in Loop: Header=BB1_179 Depth=1
	v_mov_b32_e32 v18, v65
	v_dual_mov_b32 v16, v24 :: v_dual_mov_b32 v17, v25
	s_mov_b32 s9, 0
	s_mov_b32 s10, s8
	.p2align	6
.LBB1_281:                              ;   Parent Loop BB1_179 Depth=1
                                        ; =>  This Inner Loop Header: Depth=2
	ds_load_2addr_b64 v[19:22], v18 offset1:10
	ds_load_b64 v[26:27], v18 offset:160
	v_add_co_u32 v16, vcc_lo, v16, -1
	v_add_co_ci_u32_e32 v17, vcc_lo, -1, v17, vcc_lo
	v_add_nc_u32_e32 v18, 8, v18
	s_add_i32 s11, s10, 64
	s_waitcnt lgkmcnt(1)
	s_clause 0x1
	scratch_store_b64 off, v[21:22], s10
	scratch_store_b64 off, v[19:20], s10 offset:-64
	v_cmp_eq_u64_e32 vcc_lo, 0, v[16:17]
	s_add_i32 s10, s10, 8
	s_waitcnt lgkmcnt(0)
	scratch_store_b64 off, v[26:27], s11
	s_or_b32 s9, vcc_lo, s9
	s_delay_alu instid0(SALU_CYCLE_1)
	s_and_not1_b32 exec_lo, exec_lo, s9
	s_cbranch_execnz .LBB1_281
.LBB1_282:                              ;   in Loop: Header=BB1_179 Depth=1
	s_or_b32 exec_lo, exec_lo, s1
	v_dual_mov_b32 v23, 9 :: v_dual_add_nc_u32 v26, -1, v24
	v_cmp_ne_u32_e64 s1, 0, v24
	s_delay_alu instid0(VALU_DEP_2) | instskip(NEXT) | instid1(VALU_DEP_2)
	v_ashrrev_i32_e32 v27, 31, v26
	s_and_saveexec_b32 s9, s1
	s_cbranch_execz .LBB1_296
; %bb.283:                              ;   in Loop: Header=BB1_179 Depth=1
	v_add_co_u32 v16, vcc_lo, v26, 1
	v_dual_mov_b32 v20, 0 :: v_dual_mov_b32 v23, 9
	v_dual_mov_b32 v21, 0 :: v_dual_mov_b32 v18, v26
	v_lshl_add_u32 v47, v24, 3, v74
	v_add_co_ci_u32_e32 v17, vcc_lo, 0, v27, vcc_lo
	v_mov_b32_e32 v19, v27
	s_mov_b32 s10, 0
	s_branch .LBB1_285
.LBB1_284:                              ;   in Loop: Header=BB1_285 Depth=2
	s_or_b32 exec_lo, exec_lo, s14
	v_add_co_u32 v16, vcc_lo, v16, -1
	v_add_co_ci_u32_e32 v17, vcc_lo, -1, v17, vcc_lo
	v_add_co_u32 v43, vcc_lo, v18, -1
	v_add_co_ci_u32_e32 v44, vcc_lo, -1, v19, vcc_lo
	s_delay_alu instid0(VALU_DEP_3) | instskip(SKIP_2) | instid1(VALU_DEP_4)
	v_cmp_eq_u64_e32 vcc_lo, 0, v[16:17]
	v_mov_b32_e32 v21, v19
	v_dual_mov_b32 v20, v18 :: v_dual_add_nc_u32 v47, -8, v47
	v_dual_mov_b32 v18, v43 :: v_dual_mov_b32 v19, v44
	s_or_b32 s10, vcc_lo, s10
	s_delay_alu instid0(SALU_CYCLE_1)
	s_and_not1_b32 exec_lo, exec_lo, s10
	s_cbranch_execz .LBB1_295
.LBB1_285:                              ;   Parent Loop BB1_179 Depth=1
                                        ; =>  This Inner Loop Header: Depth=2
	v_lshl_add_u32 v48, v20, 3, v65
	s_mov_b32 s11, 0
	s_mov_b32 s14, exec_lo
                                        ; implicit-def: $vgpr21_vgpr22
                                        ; implicit-def: $vgpr45
	ds_load_b64 v[43:44], v48 offset:160
	s_waitcnt lgkmcnt(0)
	v_cmpx_ge_f64_e32 v[43:44], v[34:35]
	s_xor_b32 s14, exec_lo, s14
	s_cbranch_execnz .LBB1_288
; %bb.286:                              ;   in Loop: Header=BB1_285 Depth=2
	s_and_not1_saveexec_b32 s14, s14
	s_cbranch_execnz .LBB1_291
.LBB1_287:                              ;   in Loop: Header=BB1_285 Depth=2
	s_or_b32 exec_lo, exec_lo, s14
	s_and_saveexec_b32 s14, s11
	s_cbranch_execz .LBB1_284
	s_branch .LBB1_294
.LBB1_288:                              ;   in Loop: Header=BB1_285 Depth=2
	v_lshl_add_u32 v46, v23, 3, v65
	v_add_nc_u32_e32 v23, -1, v23
	s_mov_b32 s15, exec_lo
                                        ; implicit-def: $vgpr45
	ds_store_b64 v46, v[43:44] offset:160
	ds_load_b64 v[20:21], v48
	s_waitcnt lgkmcnt(0)
	ds_store_b64 v46, v[20:21]
	ds_load_b64 v[20:21], v48 offset:80
	s_waitcnt lgkmcnt(0)
	ds_store_b64 v46, v[20:21] offset:80
	ds_load_b64 v[43:44], v47 offset:80
                                        ; implicit-def: $vgpr21_vgpr22
                                        ; implicit-def: $vgpr20
	s_waitcnt lgkmcnt(0)
	v_cmpx_lt_f64_e32 v[43:44], v[34:35]
	s_cbranch_execz .LBB1_290
; %bb.289:                              ;   in Loop: Header=BB1_285 Depth=2
	ds_load_b64 v[20:21], v48 offset:160
	v_add_f64 v[49:50], v[34:35], -v[43:44]
	v_add_nc_u32_e32 v22, 0xffffffb0, v47
	ds_store_b64 v46, v[34:35] offset:152
	v_add_nc_u32_e32 v45, 0x50, v48
	v_add_nc_u32_e32 v46, -8, v46
	s_mov_b32 s11, exec_lo
	s_waitcnt lgkmcnt(1)
	v_add_f64 v[20:21], v[20:21], -v[43:44]
	s_delay_alu instid0(VALU_DEP_1) | instskip(SKIP_1) | instid1(VALU_DEP_2)
	v_div_scale_f64 v[43:44], null, v[20:21], v[20:21], v[49:50]
	v_div_scale_f64 v[55:56], vcc_lo, v[49:50], v[20:21], v[49:50]
	v_rcp_f64_e32 v[51:52], v[43:44]
	s_waitcnt_depctr 0xfff
	v_fma_f64 v[53:54], -v[43:44], v[51:52], 1.0
	s_delay_alu instid0(VALU_DEP_1) | instskip(NEXT) | instid1(VALU_DEP_1)
	v_fma_f64 v[51:52], v[51:52], v[53:54], v[51:52]
	v_fma_f64 v[53:54], -v[43:44], v[51:52], 1.0
	s_delay_alu instid0(VALU_DEP_1) | instskip(NEXT) | instid1(VALU_DEP_1)
	v_fma_f64 v[51:52], v[51:52], v[53:54], v[51:52]
	v_mul_f64 v[53:54], v[55:56], v[51:52]
	s_delay_alu instid0(VALU_DEP_1) | instskip(NEXT) | instid1(VALU_DEP_1)
	v_fma_f64 v[43:44], -v[43:44], v[53:54], v[55:56]
	v_div_fmas_f64 v[43:44], v[43:44], v[51:52], v[53:54]
	ds_load_b64 v[51:52], v48
	ds_load_b64 v[53:54], v22
	v_div_fixup_f64 v[21:22], v[43:44], v[20:21], v[49:50]
	v_mov_b32_e32 v20, v18
	s_waitcnt lgkmcnt(0)
	v_add_f64 v[43:44], v[51:52], -v[53:54]
	s_delay_alu instid0(VALU_DEP_1)
	v_fma_f64 v[43:44], v[21:22], v[43:44], v[53:54]
	ds_store_b64 v46, v[43:44]
.LBB1_290:                              ;   in Loop: Header=BB1_285 Depth=2
	s_or_b32 exec_lo, exec_lo, s15
	s_delay_alu instid0(SALU_CYCLE_1)
	s_and_b32 s11, s11, exec_lo
                                        ; implicit-def: $vgpr43_vgpr44
                                        ; implicit-def: $vgpr48
	s_and_not1_saveexec_b32 s14, s14
	s_cbranch_execz .LBB1_287
.LBB1_291:                              ;   in Loop: Header=BB1_285 Depth=2
	ds_load_b64 v[45:46], v47 offset:80
	s_mov_b32 s16, s11
	s_mov_b32 s15, exec_lo
                                        ; implicit-def: $vgpr21_vgpr22
	s_waitcnt lgkmcnt(0)
	v_cmpx_ge_f64_e32 v[45:46], v[34:35]
	s_cbranch_execz .LBB1_293
; %bb.292:                              ;   in Loop: Header=BB1_285 Depth=2
	v_add_f64 v[21:22], v[45:46], -v[43:44]
	v_add_f64 v[43:44], v[34:35], -v[43:44]
	s_or_b32 s16, s11, exec_lo
	s_delay_alu instid0(VALU_DEP_1) | instskip(SKIP_1) | instid1(VALU_DEP_2)
	v_div_scale_f64 v[45:46], null, v[21:22], v[21:22], v[43:44]
	v_div_scale_f64 v[53:54], vcc_lo, v[43:44], v[21:22], v[43:44]
	v_rcp_f64_e32 v[49:50], v[45:46]
	s_waitcnt_depctr 0xfff
	v_fma_f64 v[51:52], -v[45:46], v[49:50], 1.0
	s_delay_alu instid0(VALU_DEP_1) | instskip(NEXT) | instid1(VALU_DEP_1)
	v_fma_f64 v[49:50], v[49:50], v[51:52], v[49:50]
	v_fma_f64 v[51:52], -v[45:46], v[49:50], 1.0
	s_delay_alu instid0(VALU_DEP_1) | instskip(NEXT) | instid1(VALU_DEP_1)
	v_fma_f64 v[49:50], v[49:50], v[51:52], v[49:50]
	v_mul_f64 v[51:52], v[53:54], v[49:50]
	s_delay_alu instid0(VALU_DEP_1) | instskip(NEXT) | instid1(VALU_DEP_1)
	v_fma_f64 v[45:46], -v[45:46], v[51:52], v[53:54]
	v_div_fmas_f64 v[45:46], v[45:46], v[49:50], v[51:52]
	v_lshl_add_u32 v52, v23, 3, v65
	v_add_nc_u32_e32 v50, 0xffffffb0, v47
	ds_store_b64 v52, v[34:35] offset:160
	ds_load_b64 v[48:49], v48
	ds_load_b64 v[50:51], v50
	v_div_fixup_f64 v[21:22], v[45:46], v[21:22], v[43:44]
	s_waitcnt lgkmcnt(0)
	v_add_f64 v[43:44], v[50:51], -v[48:49]
	s_delay_alu instid0(VALU_DEP_1)
	v_fma_f64 v[43:44], v[21:22], v[43:44], v[48:49]
	ds_store_b64 v52, v[43:44]
.LBB1_293:                              ;   in Loop: Header=BB1_285 Depth=2
	s_or_b32 exec_lo, exec_lo, s15
	v_mov_b32_e32 v45, v47
	s_and_not1_b32 s11, s11, exec_lo
	s_and_b32 s15, s16, exec_lo
	s_delay_alu instid0(SALU_CYCLE_1)
	s_or_b32 s11, s11, s15
	s_or_b32 exec_lo, exec_lo, s14
	s_and_saveexec_b32 s14, s11
	s_cbranch_execz .LBB1_284
.LBB1_294:                              ;   in Loop: Header=BB1_285 Depth=2
	v_lshl_add_u32 v20, v20, 3, v66
	ds_load_b64 v[43:44], v20
	ds_load_b64 v[45:46], v45
	s_waitcnt lgkmcnt(0)
	v_add_f64 v[45:46], v[45:46], -v[43:44]
	s_delay_alu instid0(VALU_DEP_1)
	v_fma_f64 v[20:21], v[21:22], v[45:46], v[43:44]
	v_lshl_add_u32 v22, v23, 3, v66
	v_add_nc_u32_e32 v23, -1, v23
	ds_store_b64 v22, v[20:21]
	s_branch .LBB1_284
.LBB1_295:                              ;   in Loop: Header=BB1_179 Depth=1
	s_or_b32 exec_lo, exec_lo, s10
.LBB1_296:                              ;   in Loop: Header=BB1_179 Depth=1
	s_delay_alu instid0(SALU_CYCLE_1) | instskip(NEXT) | instid1(SALU_CYCLE_1)
	s_or_b32 exec_lo, exec_lo, s9
	s_mov_b32 s9, exec_lo
	v_cmpx_gt_i32_e32 7, v23
	s_cbranch_execz .LBB1_304
; %bb.297:                              ;   in Loop: Header=BB1_179 Depth=1
	v_sub_nc_u32_e32 v53, 9, v23
	v_dual_mov_b32 v54, v42 :: v_dual_lshlrev_b32 v79, 3, v23
	s_mov_b32 s10, 0
	s_delay_alu instid0(VALU_DEP_2) | instskip(NEXT) | instid1(VALU_DEP_2)
	v_mov_b32_e32 v16, v53
	v_dual_mov_b32 v17, v54 :: v_dual_add_nc_u32 v18, v69, v79
.LBB1_298:                              ;   Parent Loop BB1_179 Depth=1
                                        ; =>  This Inner Loop Header: Depth=2
	s_delay_alu instid0(VALU_DEP_2) | instskip(NEXT) | instid1(VALU_DEP_2)
	v_add_co_u32 v16, vcc_lo, v16, -1
	v_add_co_ci_u32_e32 v17, vcc_lo, -1, v17, vcc_lo
	ds_store_b64 v18, v[34:35]
	v_add_nc_u32_e32 v18, 8, v18
	v_cmp_eq_u64_e32 vcc_lo, 0, v[16:17]
	s_or_b32 s10, vcc_lo, s10
	s_delay_alu instid0(SALU_CYCLE_1)
	s_and_not1_b32 exec_lo, exec_lo, s10
	s_cbranch_execnz .LBB1_298
; %bb.299:                              ;   in Loop: Header=BB1_179 Depth=1
	s_or_b32 exec_lo, exec_lo, s10
	v_mov_b32_e32 v45, 0
	v_mov_b32_e32 v46, 0
	s_delay_alu instid0(VALU_DEP_2) | instskip(SKIP_1) | instid1(VALU_DEP_2)
	v_mov_b32_e32 v43, v45
	s_mov_b32 s10, exec_lo
	v_mov_b32_e32 v44, v46
	v_dual_mov_b32 v48, v46 :: v_dual_mov_b32 v47, v45
	v_dual_mov_b32 v50, v46 :: v_dual_mov_b32 v49, v45
	v_cmpx_lt_u32_e32 2, v53
	s_cbranch_execz .LBB1_303
; %bb.300:                              ;   in Loop: Header=BB1_179 Depth=1
	v_lshl_add_u32 v20, v23, 3, v66
	v_add_co_u32 v53, s11, v53, -2
	s_delay_alu instid0(VALU_DEP_1) | instskip(NEXT) | instid1(VALU_DEP_3)
	v_add_co_ci_u32_e64 v54, null, 0, -1, s11
	v_add_nc_u32_e32 v43, 0xffffffb8, v20
	v_subrev_nc_u32_e32 v44, 64, v20
	s_mov_b32 s11, 0
	ds_load_2addr_b64 v[16:19], v20 offset0:1 offset1:2
	ds_load_2addr_b64 v[20:23], v20 offset0:11 offset1:12
	ds_load_b64 v[51:52], v43
	ds_load_b64 v[55:56], v44
	v_mov_b32_e32 v43, 0
	v_dual_mov_b32 v44, 0 :: v_dual_add_nc_u32 v79, v75, v79
	s_delay_alu instid0(VALU_DEP_1)
	v_dual_mov_b32 v50, v44 :: v_dual_mov_b32 v49, v43
	v_dual_mov_b32 v48, v44 :: v_dual_mov_b32 v47, v43
	;; [unrolled: 1-line block ×3, first 2 shown]
.LBB1_301:                              ;   Parent Loop BB1_179 Depth=1
                                        ; =>  This Inner Loop Header: Depth=2
	ds_load_2addr_b64 v[80:83], v79 offset1:10
	s_waitcnt lgkmcnt(3)
	v_add_f64 v[84:85], v[20:21], v[22:23]
	ds_load_b64 v[90:91], v79 offset:160
	s_waitcnt lgkmcnt(2)
	v_add_f64 v[92:93], v[51:52], v[55:56]
	v_add_f64 v[94:95], v[51:52], -v[55:56]
	v_add_co_u32 v53, vcc_lo, v53, -1
	v_add_co_ci_u32_e32 v54, vcc_lo, -1, v54, vcc_lo
	v_add_nc_u32_e32 v79, 8, v79
	s_delay_alu instid0(VALU_DEP_2)
	v_cmp_eq_u64_e32 vcc_lo, 0, v[53:54]
	s_or_b32 s11, vcc_lo, s11
	s_waitcnt lgkmcnt(1)
	v_add_f64 v[86:87], v[18:19], v[82:83]
	v_add_f64 v[88:89], v[55:56], -v[80:81]
	v_add_f64 v[18:19], v[16:17], v[18:19]
	s_waitcnt lgkmcnt(0)
	v_add_f64 v[22:23], v[22:23], v[90:91]
	v_add_f64 v[55:56], v[55:56], v[80:81]
	;; [unrolled: 1-line block ×4, first 2 shown]
	v_add_f64 v[102:103], v[80:81], -v[51:52]
	v_mul_f64 v[96:97], v[84:85], 0.5
	v_fma_f64 v[84:85], v[84:85], 0.5, 0
	v_fma_f64 v[92:93], v[36:37], v[92:93], v[0:1]
	v_mul_f64 v[88:89], v[88:89], v[86:87]
	v_fma_f64 v[104:105], v[38:39], v[18:19], v[4:5]
	v_mul_f64 v[106:107], v[22:23], 0.5
	v_fma_f64 v[55:56], v[36:37], v[55:56], v[0:1]
	v_fma_f64 v[86:87], v[38:39], v[86:87], v[4:5]
	v_fma_f64 v[108:109], v[96:97], 0.5, v[6:7]
	v_fma_f64 v[22:23], v[22:23], 0.5, v[84:85]
	v_fma_f64 v[92:93], v[92:93], v[96:97], 0
	v_fma_f64 v[18:19], v[94:95], v[18:19], v[88:89]
	v_add_f64 v[88:89], v[51:52], v[80:81]
	v_mul_f64 v[94:95], v[98:99], 0.5
	v_fma_f64 v[104:105], v[96:97], v[104:105], 0
	v_fma_f64 v[110:111], v[106:107], 0.5, v[6:7]
	v_fma_f64 v[96:97], v[96:97], v[108:109], 0
	v_fma_f64 v[22:23], v[98:99], 0.5, v[22:23]
	v_fma_f64 v[55:56], v[55:56], v[106:107], v[92:93]
	v_fma_f64 v[18:19], v[102:103], v[100:101], v[18:19]
	;; [unrolled: 1-line block ×4, first 2 shown]
	v_fma_f64 v[84:85], v[94:95], 0.5, v[6:7]
	v_fma_f64 v[86:87], v[106:107], v[86:87], v[104:105]
	v_fma_f64 v[92:93], v[106:107], v[110:111], v[96:97]
	v_mul_f64 v[18:19], v[18:19], 0.5
	v_fma_f64 v[55:56], v[88:89], v[94:95], v[55:56]
	s_delay_alu instid0(VALU_DEP_4) | instskip(NEXT) | instid1(VALU_DEP_4)
	v_fma_f64 v[86:87], v[94:95], v[100:101], v[86:87]
	v_fma_f64 v[84:85], v[94:95], v[84:85], v[92:93]
	s_delay_alu instid0(VALU_DEP_4) | instskip(NEXT) | instid1(VALU_DEP_1)
	v_mul_f64 v[18:19], v[18:19], s[4:5]
	v_fma_f64 v[43:44], v[22:23], v[18:19], v[43:44]
	v_fma_f64 v[49:50], v[18:19], v[55:56], v[49:50]
	;; [unrolled: 1-line block ×4, first 2 shown]
	v_dual_mov_b32 v55, v80 :: v_dual_mov_b32 v18, v82
	v_dual_mov_b32 v19, v83 :: v_dual_mov_b32 v22, v90
	;; [unrolled: 1-line block ×3, first 2 shown]
	s_and_not1_b32 exec_lo, exec_lo, s11
	s_cbranch_execnz .LBB1_301
; %bb.302:                              ;   in Loop: Header=BB1_179 Depth=1
	s_or_b32 exec_lo, exec_lo, s11
.LBB1_303:                              ;   in Loop: Header=BB1_179 Depth=1
	s_delay_alu instid0(SALU_CYCLE_1)
	s_or_b32 exec_lo, exec_lo, s10
	v_fma_f64 v[12:13], v[2:3], v[43:44], v[12:13]
	v_fma_f64 v[14:15], v[2:3], v[49:50], v[14:15]
	;; [unrolled: 1-line block ×4, first 2 shown]
.LBB1_304:                              ;   in Loop: Header=BB1_179 Depth=1
	s_or_b32 exec_lo, exec_lo, s9
	s_and_saveexec_b32 s9, s0
	s_cbranch_execz .LBB1_307
; %bb.305:                              ;   in Loop: Header=BB1_179 Depth=1
	v_mov_b32_e32 v18, v65
	v_dual_mov_b32 v16, v24 :: v_dual_mov_b32 v17, v25
	s_mov_b32 s0, 0
	s_mov_b32 s10, s8
	.p2align	6
.LBB1_306:                              ;   Parent Loop BB1_179 Depth=1
                                        ; =>  This Inner Loop Header: Depth=2
	s_delay_alu instid0(SALU_CYCLE_1)
	s_add_i32 s11, s10, 64
	s_clause 0x2
	scratch_load_b64 v[19:20], off, s10
	scratch_load_b64 v[21:22], off, s10 offset:-64
	scratch_load_b64 v[43:44], off, s11
	v_add_co_u32 v16, vcc_lo, v16, -1
	v_add_co_ci_u32_e32 v17, vcc_lo, -1, v17, vcc_lo
	s_add_i32 s10, s10, 8
	s_waitcnt vmcnt(1)
	ds_store_2addr_b64 v18, v[21:22], v[19:20] offset1:10
	s_waitcnt vmcnt(0)
	ds_store_b64 v18, v[43:44] offset:160
	v_cmp_eq_u64_e32 vcc_lo, 0, v[16:17]
	v_add_nc_u32_e32 v18, 8, v18
	s_or_b32 s0, vcc_lo, s0
	s_delay_alu instid0(SALU_CYCLE_1)
	s_and_not1_b32 exec_lo, exec_lo, s0
	s_cbranch_execnz .LBB1_306
.LBB1_307:                              ;   in Loop: Header=BB1_179 Depth=1
	s_or_b32 exec_lo, exec_lo, s9
	v_mov_b32_e32 v17, 0
	s_and_saveexec_b32 s0, s1
	s_cbranch_execz .LBB1_321
; %bb.308:                              ;   in Loop: Header=BB1_179 Depth=1
	v_add_co_u32 v16, vcc_lo, v26, 1
	v_lshl_add_u32 v25, v24, 3, v76
	v_add_co_ci_u32_e32 v17, vcc_lo, 0, v27, vcc_lo
	v_dual_mov_b32 v18, 0 :: v_dual_mov_b32 v43, 9
	s_mov_b32 s1, 0
	v_mov_b32_e32 v19, 0
	s_branch .LBB1_310
.LBB1_309:                              ;   in Loop: Header=BB1_310 Depth=2
	s_or_b32 exec_lo, exec_lo, s10
	v_add_co_u32 v16, vcc_lo, v16, -1
	v_add_co_ci_u32_e32 v17, vcc_lo, -1, v17, vcc_lo
	v_add_co_u32 v20, vcc_lo, v26, -1
	v_add_co_ci_u32_e32 v21, vcc_lo, -1, v27, vcc_lo
	s_delay_alu instid0(VALU_DEP_3) | instskip(SKIP_2) | instid1(VALU_DEP_4)
	v_cmp_eq_u64_e32 vcc_lo, 0, v[16:17]
	v_dual_mov_b32 v18, v26 :: v_dual_add_nc_u32 v25, -8, v25
	v_mov_b32_e32 v19, v27
	v_dual_mov_b32 v27, v21 :: v_dual_mov_b32 v26, v20
	v_mov_b32_e32 v43, v23
	s_or_b32 s1, vcc_lo, s1
	s_delay_alu instid0(SALU_CYCLE_1)
	s_and_not1_b32 exec_lo, exec_lo, s1
	s_cbranch_execz .LBB1_320
.LBB1_310:                              ;   Parent Loop BB1_179 Depth=1
                                        ; =>  This Inner Loop Header: Depth=2
	s_delay_alu instid0(VALU_DEP_2)
	v_lshl_add_u32 v45, v18, 3, v65
	s_mov_b32 s9, 0
	s_mov_b32 s10, exec_lo
                                        ; implicit-def: $sgpr11
                                        ; implicit-def: $vgpr23
                                        ; implicit-def: $vgpr19_vgpr20
                                        ; implicit-def: $vgpr44
	ds_load_b64 v[21:22], v45 offset:160
	s_waitcnt lgkmcnt(0)
	v_cmpx_nlt_f64_e32 v[21:22], v[34:35]
	s_xor_b32 s10, exec_lo, s10
	s_cbranch_execnz .LBB1_313
; %bb.311:                              ;   in Loop: Header=BB1_310 Depth=2
	s_or_saveexec_b32 s10, s10
	v_mov_b32_e32 v24, s11
	s_xor_b32 exec_lo, exec_lo, s10
	s_cbranch_execnz .LBB1_316
.LBB1_312:                              ;   in Loop: Header=BB1_310 Depth=2
	s_or_b32 exec_lo, exec_lo, s10
	s_and_saveexec_b32 s10, s9
	s_cbranch_execz .LBB1_309
	s_branch .LBB1_319
.LBB1_313:                              ;   in Loop: Header=BB1_310 Depth=2
	ds_load_b64 v[23:24], v25 offset:160
	s_mov_b32 s14, exec_lo
                                        ; implicit-def: $sgpr11
                                        ; implicit-def: $vgpr19_vgpr20
                                        ; implicit-def: $vgpr44
	s_waitcnt lgkmcnt(0)
	v_cmpx_lt_f64_e32 v[23:24], v[34:35]
	s_xor_b32 s14, exec_lo, s14
	s_cbranch_execz .LBB1_315
; %bb.314:                              ;   in Loop: Header=BB1_310 Depth=2
	v_add_f64 v[19:20], v[21:22], -v[23:24]
	v_add_f64 v[21:22], v[34:35], -v[23:24]
	s_mov_b32 s9, exec_lo
	s_mov_b32 s11, -1
	s_delay_alu instid0(VALU_DEP_1) | instskip(SKIP_1) | instid1(VALU_DEP_2)
	v_div_scale_f64 v[23:24], null, v[19:20], v[19:20], v[21:22]
	v_div_scale_f64 v[50:51], vcc_lo, v[21:22], v[19:20], v[21:22]
	v_rcp_f64_e32 v[46:47], v[23:24]
	s_waitcnt_depctr 0xfff
	v_fma_f64 v[48:49], -v[23:24], v[46:47], 1.0
	s_delay_alu instid0(VALU_DEP_1) | instskip(NEXT) | instid1(VALU_DEP_1)
	v_fma_f64 v[46:47], v[46:47], v[48:49], v[46:47]
	v_fma_f64 v[48:49], -v[23:24], v[46:47], 1.0
	s_delay_alu instid0(VALU_DEP_1) | instskip(NEXT) | instid1(VALU_DEP_1)
	v_fma_f64 v[46:47], v[46:47], v[48:49], v[46:47]
	v_mul_f64 v[48:49], v[50:51], v[46:47]
	s_delay_alu instid0(VALU_DEP_1) | instskip(NEXT) | instid1(VALU_DEP_1)
	v_fma_f64 v[23:24], -v[23:24], v[48:49], v[50:51]
	v_div_fmas_f64 v[23:24], v[23:24], v[46:47], v[48:49]
	v_lshl_add_u32 v48, v43, 3, v65
	ds_store_b64 v48, v[34:35] offset:160
	ds_load_b64 v[46:47], v25
	ds_load_b64 v[44:45], v45
	v_div_fixup_f64 v[19:20], v[23:24], v[19:20], v[21:22]
	s_waitcnt lgkmcnt(0)
	v_add_f64 v[21:22], v[44:45], -v[46:47]
	v_add_nc_u32_e32 v44, 0x50, v25
	s_delay_alu instid0(VALU_DEP_2)
	v_fma_f64 v[21:22], v[19:20], v[21:22], v[46:47]
	ds_store_b64 v48, v[21:22]
.LBB1_315:                              ;   in Loop: Header=BB1_310 Depth=2
	s_or_b32 exec_lo, exec_lo, s14
	v_mov_b32_e32 v23, v43
	s_and_b32 s9, s9, exec_lo
                                        ; implicit-def: $vgpr21_vgpr22
                                        ; implicit-def: $vgpr45
	s_or_saveexec_b32 s10, s10
	v_mov_b32_e32 v24, s11
	s_xor_b32 exec_lo, exec_lo, s10
	s_cbranch_execz .LBB1_312
.LBB1_316:                              ;   in Loop: Header=BB1_310 Depth=2
	v_lshl_add_u32 v24, v43, 3, v65
	v_add_nc_u32_e32 v23, -1, v43
	s_mov_b32 s14, s9
	s_mov_b32 s11, exec_lo
                                        ; implicit-def: $sgpr15
                                        ; implicit-def: $vgpr44
	ds_store_b64 v24, v[21:22] offset:160
	ds_load_b64 v[18:19], v45
	s_waitcnt lgkmcnt(0)
	ds_store_b64 v24, v[18:19]
	ds_load_b64 v[18:19], v45 offset:80
	s_waitcnt lgkmcnt(0)
	ds_store_b64 v24, v[18:19] offset:80
	ds_load_b64 v[21:22], v25 offset:160
                                        ; implicit-def: $vgpr19_vgpr20
                                        ; implicit-def: $vgpr18
	s_waitcnt lgkmcnt(0)
	v_cmpx_ge_f64_e32 v[21:22], v[34:35]
	s_cbranch_execz .LBB1_318
; %bb.317:                              ;   in Loop: Header=BB1_310 Depth=2
	ds_load_b64 v[18:19], v45 offset:160
	ds_store_b64 v24, v[34:35] offset:152
	v_add_nc_u32_e32 v44, 0x50, v45
	v_add_nc_u32_e32 v24, -8, v24
	s_mov_b32 s15, -2
	s_or_b32 s14, s9, exec_lo
	s_waitcnt lgkmcnt(1)
	v_add_f64 v[20:21], v[21:22], -v[18:19]
	v_add_f64 v[18:19], v[34:35], -v[18:19]
	s_delay_alu instid0(VALU_DEP_1) | instskip(SKIP_1) | instid1(VALU_DEP_2)
	v_div_scale_f64 v[46:47], null, v[20:21], v[20:21], v[18:19]
	v_div_scale_f64 v[52:53], vcc_lo, v[18:19], v[20:21], v[18:19]
	v_rcp_f64_e32 v[48:49], v[46:47]
	s_waitcnt_depctr 0xfff
	v_fma_f64 v[50:51], -v[46:47], v[48:49], 1.0
	s_delay_alu instid0(VALU_DEP_1) | instskip(NEXT) | instid1(VALU_DEP_1)
	v_fma_f64 v[48:49], v[48:49], v[50:51], v[48:49]
	v_fma_f64 v[50:51], -v[46:47], v[48:49], 1.0
	s_delay_alu instid0(VALU_DEP_1) | instskip(NEXT) | instid1(VALU_DEP_1)
	v_fma_f64 v[48:49], v[48:49], v[50:51], v[48:49]
	v_mul_f64 v[50:51], v[52:53], v[48:49]
	s_delay_alu instid0(VALU_DEP_1) | instskip(NEXT) | instid1(VALU_DEP_1)
	v_fma_f64 v[46:47], -v[46:47], v[50:51], v[52:53]
	v_div_fmas_f64 v[46:47], v[46:47], v[48:49], v[50:51]
	ds_load_b64 v[48:49], v45
	ds_load_b64 v[50:51], v25
	v_div_fixup_f64 v[19:20], v[46:47], v[20:21], v[18:19]
	s_waitcnt lgkmcnt(0)
	v_add_f64 v[21:22], v[50:51], -v[48:49]
	v_mov_b32_e32 v18, v26
	s_delay_alu instid0(VALU_DEP_2)
	v_fma_f64 v[21:22], v[19:20], v[21:22], v[48:49]
	ds_store_b64 v24, v[21:22]
.LBB1_318:                              ;   in Loop: Header=BB1_310 Depth=2
	s_or_b32 exec_lo, exec_lo, s11
	v_mov_b32_e32 v24, s15
	s_and_not1_b32 s9, s9, exec_lo
	s_and_b32 s11, s14, exec_lo
	s_delay_alu instid0(SALU_CYCLE_1)
	s_or_b32 s9, s9, s11
	s_or_b32 exec_lo, exec_lo, s10
	s_and_saveexec_b32 s10, s9
	s_cbranch_execz .LBB1_309
.LBB1_319:                              ;   in Loop: Header=BB1_310 Depth=2
	v_lshl_add_u32 v18, v18, 3, v66
	ds_load_b64 v[21:22], v44
	ds_load_b64 v[44:45], v18
	s_waitcnt lgkmcnt(0)
	v_add_f64 v[44:45], v[44:45], -v[21:22]
	s_delay_alu instid0(VALU_DEP_1)
	v_fma_f64 v[18:19], v[19:20], v[44:45], v[21:22]
	v_lshl_add_u32 v20, v23, 3, v66
	v_add_nc_u32_e32 v23, v24, v43
	ds_store_b64 v20, v[18:19]
	s_branch .LBB1_309
.LBB1_320:                              ;   in Loop: Header=BB1_179 Depth=1
	s_or_b32 exec_lo, exec_lo, s1
	v_add_nc_u32_e32 v17, -9, v23
.LBB1_321:                              ;   in Loop: Header=BB1_179 Depth=1
	s_or_b32 exec_lo, exec_lo, s0
	v_mov_b32_e32 v45, 0
	s_mov_b32 s1, 0
	s_mov_b32 s0, exec_lo
	v_cmpx_ne_u32_e32 0, v17
	s_cbranch_execz .LBB1_335
; %bb.322:                              ;   in Loop: Header=BB1_179 Depth=1
	v_add_nc_u32_e32 v16, 10, v17
	v_dual_mov_b32 v20, 9 :: v_dual_mov_b32 v45, 0
	v_lshl_add_u32 v27, v17, 3, v66
	v_mov_b32_e32 v21, 0
	s_delay_alu instid0(VALU_DEP_4) | instskip(SKIP_1) | instid1(VALU_DEP_2)
	v_ashrrev_i32_e32 v17, 31, v16
	v_add_co_u32 v18, vcc_lo, v16, -10
	v_add_co_ci_u32_e32 v19, vcc_lo, -1, v17, vcc_lo
	s_branch .LBB1_324
.LBB1_323:                              ;   in Loop: Header=BB1_324 Depth=2
	s_or_b32 exec_lo, exec_lo, s10
	v_add_co_u32 v18, vcc_lo, v18, 1
	v_add_co_ci_u32_e32 v19, vcc_lo, 0, v19, vcc_lo
	v_add_co_u32 v22, vcc_lo, v16, 1
	v_add_co_ci_u32_e32 v23, vcc_lo, 0, v17, vcc_lo
	s_delay_alu instid0(VALU_DEP_3) | instskip(SKIP_2) | instid1(VALU_DEP_4)
	v_cmp_eq_u64_e32 vcc_lo, 0, v[18:19]
	v_mov_b32_e32 v21, v17
	v_dual_mov_b32 v20, v16 :: v_dual_add_nc_u32 v27, 8, v27
	v_dual_mov_b32 v16, v22 :: v_dual_mov_b32 v17, v23
	s_or_b32 s1, vcc_lo, s1
	s_delay_alu instid0(SALU_CYCLE_1)
	s_and_not1_b32 exec_lo, exec_lo, s1
	s_cbranch_execz .LBB1_334
.LBB1_324:                              ;   Parent Loop BB1_179 Depth=1
                                        ; =>  This Inner Loop Header: Depth=2
	v_lshl_add_u32 v44, v20, 3, v65
	s_mov_b32 s9, 0
	s_mov_b32 s10, exec_lo
                                        ; implicit-def: $vgpr25
                                        ; implicit-def: $vgpr21_vgpr22
                                        ; implicit-def: $vgpr43
	ds_load_b64 v[23:24], v44 offset:160
	s_waitcnt lgkmcnt(0)
	v_cmpx_le_f64_e32 0, v[23:24]
	s_xor_b32 s10, exec_lo, s10
	s_cbranch_execnz .LBB1_327
; %bb.325:                              ;   in Loop: Header=BB1_324 Depth=2
	s_and_not1_saveexec_b32 s10, s10
	s_cbranch_execnz .LBB1_330
.LBB1_326:                              ;   in Loop: Header=BB1_324 Depth=2
	s_or_b32 exec_lo, exec_lo, s10
	s_and_saveexec_b32 s10, s9
	s_cbranch_execz .LBB1_323
	s_branch .LBB1_333
.LBB1_327:                              ;   in Loop: Header=BB1_324 Depth=2
	v_lshl_add_u32 v26, v45, 3, v65
	v_add_nc_u32_e32 v25, 1, v45
	s_mov_b32 s11, exec_lo
                                        ; implicit-def: $vgpr43
	ds_store_b64 v26, v[23:24] offset:160
	ds_load_b64 v[20:21], v44
	s_waitcnt lgkmcnt(0)
	ds_store_b64 v26, v[20:21]
	ds_load_b64 v[20:21], v44 offset:80
	s_waitcnt lgkmcnt(0)
	ds_store_b64 v26, v[20:21] offset:80
	ds_load_b64 v[23:24], v27 offset:160
                                        ; implicit-def: $vgpr21_vgpr22
                                        ; implicit-def: $vgpr20
	s_waitcnt lgkmcnt(0)
	v_cmpx_gt_f64_e32 0, v[23:24]
	s_cbranch_execz .LBB1_329
; %bb.328:                              ;   in Loop: Header=BB1_324 Depth=2
	ds_load_b64 v[20:21], v44 offset:160
	v_add_f64 v[46:47], -v[23:24], 0
	v_mov_b32_e32 v43, v42
	s_mov_b32 s9, exec_lo
	s_waitcnt lgkmcnt(0)
	v_add_f64 v[20:21], v[20:21], -v[23:24]
	v_lshl_add_u32 v24, v45, 3, v69
	s_delay_alu instid0(VALU_DEP_2) | instskip(SKIP_1) | instid1(VALU_DEP_2)
	v_div_scale_f64 v[22:23], null, v[20:21], v[20:21], v[46:47]
	v_div_scale_f64 v[52:53], vcc_lo, v[46:47], v[20:21], v[46:47]
	v_rcp_f64_e32 v[48:49], v[22:23]
	s_waitcnt_depctr 0xfff
	v_fma_f64 v[50:51], -v[22:23], v[48:49], 1.0
	s_delay_alu instid0(VALU_DEP_1) | instskip(NEXT) | instid1(VALU_DEP_1)
	v_fma_f64 v[48:49], v[48:49], v[50:51], v[48:49]
	v_fma_f64 v[50:51], -v[22:23], v[48:49], 1.0
	s_delay_alu instid0(VALU_DEP_1) | instskip(NEXT) | instid1(VALU_DEP_1)
	v_fma_f64 v[48:49], v[48:49], v[50:51], v[48:49]
	v_mul_f64 v[50:51], v[52:53], v[48:49]
	s_delay_alu instid0(VALU_DEP_1) | instskip(NEXT) | instid1(VALU_DEP_1)
	v_fma_f64 v[22:23], -v[22:23], v[50:51], v[52:53]
	v_div_fmas_f64 v[22:23], v[22:23], v[48:49], v[50:51]
	s_delay_alu instid0(VALU_DEP_1)
	v_div_fixup_f64 v[21:22], v[22:23], v[20:21], v[46:47]
	v_mov_b32_e32 v20, v16
	ds_store_b64 v24, v[42:43]
	ds_load_b64 v[48:49], v27
	ds_load_b64 v[50:51], v44
	v_add_nc_u32_e32 v43, 0x50, v44
	s_waitcnt lgkmcnt(0)
	v_add_f64 v[23:24], v[50:51], -v[48:49]
	s_delay_alu instid0(VALU_DEP_1)
	v_fma_f64 v[23:24], v[21:22], v[23:24], v[48:49]
	ds_store_b64 v26, v[23:24] offset:8
.LBB1_329:                              ;   in Loop: Header=BB1_324 Depth=2
	s_or_b32 exec_lo, exec_lo, s11
	v_mov_b32_e32 v45, v25
	s_and_b32 s9, s9, exec_lo
                                        ; implicit-def: $vgpr23_vgpr24
                                        ; implicit-def: $vgpr44
	s_and_not1_saveexec_b32 s10, s10
	s_cbranch_execz .LBB1_326
.LBB1_330:                              ;   in Loop: Header=BB1_324 Depth=2
	ds_load_b64 v[25:26], v27 offset:160
	s_mov_b32 s14, s9
	s_mov_b32 s11, exec_lo
                                        ; implicit-def: $vgpr21_vgpr22
                                        ; implicit-def: $vgpr43
	s_waitcnt lgkmcnt(0)
	v_cmpx_le_f64_e32 0, v[25:26]
	s_cbranch_execz .LBB1_332
; %bb.331:                              ;   in Loop: Header=BB1_324 Depth=2
	v_add_f64 v[21:22], v[25:26], -v[23:24]
	v_add_f64 v[23:24], -v[23:24], 0
	v_mov_b32_e32 v43, v42
	s_or_b32 s14, s9, exec_lo
	s_delay_alu instid0(VALU_DEP_2) | instskip(SKIP_1) | instid1(VALU_DEP_2)
	v_div_scale_f64 v[25:26], null, v[21:22], v[21:22], v[23:24]
	v_div_scale_f64 v[50:51], vcc_lo, v[23:24], v[21:22], v[23:24]
	v_rcp_f64_e32 v[46:47], v[25:26]
	s_waitcnt_depctr 0xfff
	v_fma_f64 v[48:49], -v[25:26], v[46:47], 1.0
	s_delay_alu instid0(VALU_DEP_1) | instskip(NEXT) | instid1(VALU_DEP_1)
	v_fma_f64 v[46:47], v[46:47], v[48:49], v[46:47]
	v_fma_f64 v[48:49], -v[25:26], v[46:47], 1.0
	s_delay_alu instid0(VALU_DEP_1) | instskip(NEXT) | instid1(VALU_DEP_1)
	v_fma_f64 v[46:47], v[46:47], v[48:49], v[46:47]
	v_mul_f64 v[48:49], v[50:51], v[46:47]
	s_delay_alu instid0(VALU_DEP_1) | instskip(NEXT) | instid1(VALU_DEP_1)
	v_fma_f64 v[25:26], -v[25:26], v[48:49], v[50:51]
	v_div_fmas_f64 v[25:26], v[25:26], v[46:47], v[48:49]
	v_lshl_add_u32 v48, v45, 3, v65
	ds_store_b64 v48, v[42:43] offset:160
	ds_load_b64 v[43:44], v44
	ds_load_b64 v[46:47], v27
	v_div_fixup_f64 v[21:22], v[25:26], v[21:22], v[23:24]
	s_waitcnt lgkmcnt(0)
	v_add_f64 v[23:24], v[46:47], -v[43:44]
	s_delay_alu instid0(VALU_DEP_1)
	v_fma_f64 v[23:24], v[21:22], v[23:24], v[43:44]
	v_add_nc_u32_e32 v43, 0x50, v27
	ds_store_b64 v48, v[23:24]
.LBB1_332:                              ;   in Loop: Header=BB1_324 Depth=2
	s_or_b32 exec_lo, exec_lo, s11
	v_mov_b32_e32 v25, v45
	s_and_not1_b32 s9, s9, exec_lo
	s_and_b32 s11, s14, exec_lo
	s_delay_alu instid0(SALU_CYCLE_1)
	s_or_b32 s9, s9, s11
	s_or_b32 exec_lo, exec_lo, s10
	s_and_saveexec_b32 s10, s9
	s_cbranch_execz .LBB1_323
.LBB1_333:                              ;   in Loop: Header=BB1_324 Depth=2
	v_lshl_add_u32 v20, v20, 3, v66
	v_add_nc_u32_e32 v45, 1, v25
	ds_load_b64 v[23:24], v20
	ds_load_b64 v[43:44], v43
	s_waitcnt lgkmcnt(0)
	v_add_f64 v[43:44], v[43:44], -v[23:24]
	s_delay_alu instid0(VALU_DEP_1)
	v_fma_f64 v[20:21], v[21:22], v[43:44], v[23:24]
	v_lshl_add_u32 v22, v25, 3, v66
	ds_store_b64 v22, v[20:21]
	s_branch .LBB1_323
.LBB1_334:                              ;   in Loop: Header=BB1_179 Depth=1
	s_or_b32 exec_lo, exec_lo, s1
.LBB1_335:                              ;   in Loop: Header=BB1_179 Depth=1
	s_delay_alu instid0(SALU_CYCLE_1) | instskip(NEXT) | instid1(SALU_CYCLE_1)
	s_or_b32 exec_lo, exec_lo, s0
	s_mov_b32 s0, exec_lo
	v_cmpx_lt_i32_e32 2, v45
	s_cbranch_execz .LBB1_178
; %bb.336:                              ;   in Loop: Header=BB1_179 Depth=1
	ds_load_2addr_b64 v[16:19], v65 offset1:1
	ds_load_2addr_b64 v[20:23], v65 offset0:10 offset1:11
	ds_load_2addr_b64 v[24:27], v65 offset0:20 offset1:21
	v_mov_b32_e32 v43, 0
	v_dual_mov_b32 v44, 0 :: v_dual_mov_b32 v53, v77
	v_add_co_u32 v45, s1, v45, -2
	s_delay_alu instid0(VALU_DEP_1) | instskip(NEXT) | instid1(VALU_DEP_3)
	v_add_co_ci_u32_e64 v46, null, 0, -1, s1
	v_dual_mov_b32 v48, v44 :: v_dual_mov_b32 v47, v43
	v_dual_mov_b32 v50, v44 :: v_dual_mov_b32 v49, v43
	;; [unrolled: 1-line block ×3, first 2 shown]
	s_mov_b32 s1, 0
.LBB1_337:                              ;   Parent Loop BB1_179 Depth=1
                                        ; =>  This Inner Loop Header: Depth=2
	ds_load_2addr_b64 v[79:82], v53 offset1:10
	s_waitcnt lgkmcnt(1)
	v_add_f64 v[54:55], v[24:25], v[26:27]
	ds_load_b64 v[87:88], v53 offset:160
	v_add_f64 v[89:90], v[16:17], v[18:19]
	v_add_f64 v[91:92], v[16:17], -v[18:19]
	v_add_co_u32 v45, vcc_lo, v45, -1
	v_add_co_ci_u32_e32 v46, vcc_lo, -1, v46, vcc_lo
	v_add_nc_u32_e32 v53, 8, v53
	s_delay_alu instid0(VALU_DEP_2)
	v_cmp_eq_u64_e32 vcc_lo, 0, v[45:46]
	s_or_b32 s1, vcc_lo, s1
	s_waitcnt lgkmcnt(1)
	v_add_f64 v[83:84], v[22:23], v[81:82]
	v_add_f64 v[85:86], v[18:19], -v[79:80]
	v_add_f64 v[22:23], v[20:21], v[22:23]
	s_waitcnt lgkmcnt(0)
	v_add_f64 v[26:27], v[26:27], v[87:88]
	v_add_f64 v[18:19], v[18:19], v[79:80]
	;; [unrolled: 1-line block ×4, first 2 shown]
	v_add_f64 v[99:100], v[79:80], -v[16:17]
	v_mul_f64 v[93:94], v[54:55], 0.5
	v_fma_f64 v[54:55], v[54:55], 0.5, 0
	v_fma_f64 v[89:90], v[36:37], v[89:90], v[0:1]
	v_mul_f64 v[85:86], v[85:86], v[83:84]
	v_fma_f64 v[101:102], v[38:39], v[22:23], v[4:5]
	v_mul_f64 v[103:104], v[26:27], 0.5
	v_fma_f64 v[18:19], v[36:37], v[18:19], v[0:1]
	v_fma_f64 v[83:84], v[38:39], v[83:84], v[4:5]
	v_fma_f64 v[105:106], v[93:94], 0.5, v[6:7]
	v_fma_f64 v[26:27], v[26:27], 0.5, v[54:55]
	v_fma_f64 v[89:90], v[89:90], v[93:94], 0
	v_fma_f64 v[22:23], v[91:92], v[22:23], v[85:86]
	v_add_f64 v[85:86], v[16:17], v[79:80]
	v_mul_f64 v[91:92], v[95:96], 0.5
	v_fma_f64 v[101:102], v[93:94], v[101:102], 0
	v_fma_f64 v[107:108], v[103:104], 0.5, v[6:7]
	v_fma_f64 v[93:94], v[93:94], v[105:106], 0
	v_fma_f64 v[26:27], v[95:96], 0.5, v[26:27]
	v_fma_f64 v[18:19], v[18:19], v[103:104], v[89:90]
	v_fma_f64 v[22:23], v[99:100], v[97:98], v[22:23]
	;; [unrolled: 1-line block ×4, first 2 shown]
	v_fma_f64 v[54:55], v[91:92], 0.5, v[6:7]
	v_fma_f64 v[83:84], v[103:104], v[83:84], v[101:102]
	v_fma_f64 v[89:90], v[103:104], v[107:108], v[93:94]
	v_mul_f64 v[22:23], v[22:23], 0.5
	v_fma_f64 v[18:19], v[85:86], v[91:92], v[18:19]
	s_delay_alu instid0(VALU_DEP_4) | instskip(NEXT) | instid1(VALU_DEP_4)
	v_fma_f64 v[83:84], v[91:92], v[97:98], v[83:84]
	v_fma_f64 v[54:55], v[91:92], v[54:55], v[89:90]
	s_delay_alu instid0(VALU_DEP_4) | instskip(NEXT) | instid1(VALU_DEP_1)
	v_mul_f64 v[22:23], v[22:23], s[4:5]
	v_fma_f64 v[43:44], v[26:27], v[22:23], v[43:44]
	v_fma_f64 v[47:48], v[22:23], v[18:19], v[47:48]
	v_mov_b32_e32 v18, v79
	v_fma_f64 v[49:50], v[22:23], v[83:84], v[49:50]
	v_fma_f64 v[51:52], v[22:23], v[54:55], v[51:52]
	v_dual_mov_b32 v19, v80 :: v_dual_mov_b32 v22, v81
	v_dual_mov_b32 v23, v82 :: v_dual_mov_b32 v26, v87
	v_mov_b32_e32 v27, v88
	s_and_not1_b32 exec_lo, exec_lo, s1
	s_cbranch_execnz .LBB1_337
; %bb.338:                              ;   in Loop: Header=BB1_179 Depth=1
	s_or_b32 exec_lo, exec_lo, s1
	v_fma_f64 v[12:13], v[2:3], v[43:44], v[12:13]
	v_fma_f64 v[14:15], v[2:3], v[47:48], v[14:15]
	;; [unrolled: 1-line block ×4, first 2 shown]
	s_branch .LBB1_178
.LBB1_339:
	s_or_b32 exec_lo, exec_lo, s7
.LBB1_340:
	s_delay_alu instid0(SALU_CYCLE_1) | instskip(SKIP_3) | instid1(VALU_DEP_1)
	s_or_b32 exec_lo, exec_lo, s6
	scratch_load_b32 v17, off, off offset:4
	s_waitcnt vmcnt(0)
	v_and_b32_e32 v16, 1, v17
	v_cmp_eq_u32_e32 vcc_lo, 1, v16
	v_mov_b32_e32 v16, 0
	s_and_saveexec_b32 s0, vcc_lo
	s_cbranch_execz .LBB1_342
; %bb.341:
	v_mov_b32_e32 v18, 0
	v_mov_b32_e32 v16, 1
	scratch_store_b8 off, v18, off offset:16
.LBB1_342:
	s_or_b32 exec_lo, exec_lo, s0
	v_and_b32_e32 v18, 2, v17
	s_mov_b32 s0, exec_lo
	s_delay_alu instid0(VALU_DEP_1)
	v_cmpx_ne_u32_e32 0, v18
	s_cbranch_execz .LBB1_344
; %bb.343:
	v_add_nc_u32_e32 v18, 1, v16
	v_or_b32_e32 v19, 16, v16
	v_mov_b32_e32 v20, 1
	s_delay_alu instid0(VALU_DEP_3)
	v_mov_b32_e32 v16, v18
	scratch_store_b8 v19, v20, off
.LBB1_344:
	s_or_b32 exec_lo, exec_lo, s0
	v_and_b32_e32 v18, 4, v17
	s_mov_b32 s0, exec_lo
	s_delay_alu instid0(VALU_DEP_1)
	v_cmpx_ne_u32_e32 0, v18
	s_cbranch_execz .LBB1_346
; %bb.345:
	v_add_nc_u32_e32 v18, 1, v16
	v_or_b32_e32 v19, 16, v16
	v_mov_b32_e32 v20, 2
	s_delay_alu instid0(VALU_DEP_3)
	v_mov_b32_e32 v16, v18
	scratch_store_b8 v19, v20, off
.LBB1_346:
	;; [unrolled: 14-line block ×4, first 2 shown]
	s_or_b32 exec_lo, exec_lo, s0
	v_and_b32_e32 v18, 32, v17
	s_mov_b32 s0, exec_lo
	s_delay_alu instid0(VALU_DEP_1)
	v_cmpx_ne_u32_e32 0, v18
	s_cbranch_execz .LBB1_352
; %bb.351:
	v_dual_mov_b32 v18, 5 :: v_dual_add_nc_u32 v19, 1, v16
	scratch_store_b8 v16, v18, off offset:16
	v_mov_b32_e32 v16, v19
.LBB1_352:
	s_or_b32 exec_lo, exec_lo, s0
	v_and_b32_e32 v18, 64, v17
	s_mov_b32 s0, exec_lo
	s_delay_alu instid0(VALU_DEP_1)
	v_cmpx_ne_u32_e32 0, v18
	s_cbranch_execz .LBB1_354
; %bb.353:
	v_dual_mov_b32 v18, 6 :: v_dual_add_nc_u32 v19, 1, v16
	scratch_store_b8 v16, v18, off offset:16
	v_mov_b32_e32 v16, v19
.LBB1_354:
	;; [unrolled: 11-line block ×19, first 2 shown]
	s_or_b32 exec_lo, exec_lo, s0
	s_mov_b32 s3, 0
	s_mov_b32 s2, exec_lo
	s_delay_alu instid0(VALU_DEP_1)
	v_cmpx_ne_u32_e32 0, v16
	s_cbranch_execz .LBB1_420
; %bb.389:
	v_add_f64 v[20:21], v[34:35], v[34:35]
	v_dual_mov_b32 v17, 0 :: v_dual_mov_b32 v52, 16
	s_mov_b32 s0, 0x55555555
	s_mov_b32 s1, 0x3fd55555
	s_delay_alu instid0(VALU_DEP_2) | instskip(SKIP_1) | instid1(VALU_DEP_2)
	v_mul_f64 v[18:19], v[20:21], 0.5
	v_fma_f64 v[24:25], v[20:21], 0.5, 0
	v_fma_f64 v[22:23], v[18:19], 0.5, v[6:7]
	s_delay_alu instid0(VALU_DEP_2) | instskip(NEXT) | instid1(VALU_DEP_2)
	v_fma_f64 v[24:25], v[20:21], 0.5, v[24:25]
	v_fma_f64 v[26:27], v[18:19], v[22:23], 0
	s_delay_alu instid0(VALU_DEP_2) | instskip(NEXT) | instid1(VALU_DEP_2)
	v_fma_f64 v[20:21], v[20:21], 0.5, v[24:25]
	v_fma_f64 v[26:27], v[18:19], v[22:23], v[26:27]
	s_delay_alu instid0(VALU_DEP_1)
	v_fma_f64 v[22:23], v[18:19], v[22:23], v[26:27]
	s_branch .LBB1_392
.LBB1_390:                              ;   in Loop: Header=BB1_392 Depth=1
	s_or_b32 exec_lo, exec_lo, s5
	s_delay_alu instid0(VALU_DEP_1)
	v_dual_mov_b32 v54, v53 :: v_dual_mov_b32 v53, v66
.LBB1_391:                              ;   in Loop: Header=BB1_392 Depth=1
	s_or_b32 exec_lo, exec_lo, s4
	s_delay_alu instid0(VALU_DEP_1) | instskip(NEXT) | instid1(VALU_DEP_2)
	v_lshl_add_u32 v53, v53, 3, 0xf0
	v_lshl_add_u32 v68, v54, 3, 0xf0
	s_waitcnt vmcnt(6)
	v_add_f64 v[24:25], v[24:25], v[40:41]
	s_waitcnt vmcnt(2)
	v_add_f64 v[40:41], v[46:47], v[50:51]
	v_add_co_u32 v16, vcc_lo, v16, -1
	v_add_nc_u32_e32 v55, 64, v53
	v_add_nc_u32_e32 v66, 64, v68
	v_add_co_ci_u32_e32 v17, vcc_lo, -1, v17, vcc_lo
	v_add_nc_u32_e32 v52, 1, v52
	s_clause 0x3
	scratch_load_b64 v[55:56], v55, off
	scratch_load_b64 v[53:54], v53, off
	scratch_load_b64 v[66:67], v66, off
	scratch_load_b64 v[68:69], v68, off
	v_cmp_eq_u64_e32 vcc_lo, 0, v[16:17]
	s_or_b32 s3, vcc_lo, s3
	v_add_f64 v[24:25], v[24:25], v[26:27]
	s_waitcnt vmcnt(5)
	v_add_f64 v[26:27], v[40:41], v[48:49]
	s_delay_alu instid0(VALU_DEP_2) | instskip(SKIP_1) | instid1(VALU_DEP_2)
	v_add_f64 v[24:25], v[24:25], v[42:43]
	s_waitcnt vmcnt(4)
	v_add_f64 v[26:27], v[26:27], v[44:45]
	s_delay_alu instid0(VALU_DEP_2) | instskip(NEXT) | instid1(VALU_DEP_2)
	v_fma_f64 v[24:25], 0x3fd00000, v[24:25], -v[0:1]
	v_fma_f64 v[26:27], 0x3fd00000, v[26:27], -v[4:5]
	s_delay_alu instid0(VALU_DEP_2)
	v_mul_f64 v[24:25], v[32:33], v[24:25]
	s_waitcnt vmcnt(2)
	v_add_f64 v[42:43], v[53:54], -v[0:1]
	v_add_f64 v[40:41], v[55:56], -v[4:5]
	s_waitcnt vmcnt(1)
	v_add_f64 v[44:45], v[66:67], -v[4:5]
	s_waitcnt vmcnt(0)
	v_add_f64 v[46:47], v[68:69], -v[0:1]
	s_delay_alu instid0(VALU_DEP_4) | instskip(NEXT) | instid1(VALU_DEP_4)
	v_fma_f64 v[48:49], -v[32:33], v[42:43], v[24:25]
	v_mul_f64 v[40:41], v[30:31], v[40:41]
	s_delay_alu instid0(VALU_DEP_4) | instskip(NEXT) | instid1(VALU_DEP_4)
	v_mul_f64 v[50:51], v[30:31], v[44:45]
	v_mul_f64 v[55:56], v[32:33], v[46:47]
	v_fma_f64 v[66:67], v[32:33], v[46:47], v[24:25]
	v_fma_f64 v[46:47], v[32:33], v[46:47], -v[24:25]
	v_fma_f64 v[70:71], v[32:33], v[42:43], v[24:25]
	v_fma_f64 v[53:54], v[30:31], v[26:27], v[40:41]
	;; [unrolled: 1-line block ×3, first 2 shown]
	v_fma_f64 v[72:73], v[32:33], v[42:43], -v[55:56]
	v_fma_f64 v[66:67], v[36:37], v[66:67], v[0:1]
	v_fma_f64 v[44:45], v[30:31], v[44:45], v[40:41]
	v_mul_f64 v[48:49], v[48:49], v[53:54]
	v_fma_f64 v[53:54], v[38:39], v[53:54], v[4:5]
	s_delay_alu instid0(VALU_DEP_4) | instskip(NEXT) | instid1(VALU_DEP_3)
	v_fma_f64 v[66:67], v[18:19], v[66:67], 0
	v_fma_f64 v[46:47], v[46:47], v[68:69], v[48:49]
	;; [unrolled: 1-line block ×5, first 2 shown]
	v_mul_f64 v[42:43], v[32:33], v[42:43]
	v_fma_f64 v[46:47], v[72:73], v[44:45], v[46:47]
	v_fma_f64 v[48:49], v[18:19], v[48:49], 0
	;; [unrolled: 1-line block ×5, first 2 shown]
	ds_store_2addr_b64 v65, v[55:56], v[42:43] offset1:2
	ds_store_2addr_b64 v65, v[50:51], v[40:41] offset0:10 offset1:12
	ds_store_2addr_b64 v65, v[34:35], v[34:35] offset0:20 offset1:22
	v_mul_f64 v[46:47], v[46:47], 0.5
	v_fma_f64 v[48:49], v[18:19], v[53:54], v[48:49]
	v_fma_f64 v[53:54], v[18:19], v[70:71], v[66:67]
	s_delay_alu instid0(VALU_DEP_3) | instskip(NEXT) | instid1(VALU_DEP_3)
	v_mul_f64 v[46:47], v[46:47], s[0:1]
	v_fma_f64 v[44:45], v[18:19], v[44:45], v[48:49]
	s_delay_alu instid0(VALU_DEP_2) | instskip(NEXT) | instid1(VALU_DEP_4)
	v_fma_f64 v[48:49], v[20:21], v[46:47], 0
	v_fma_f64 v[53:54], v[53:54], v[46:47], 0
	s_delay_alu instid0(VALU_DEP_3) | instskip(SKIP_1) | instid1(VALU_DEP_4)
	v_fma_f64 v[44:45], v[46:47], v[44:45], 0
	v_fma_f64 v[46:47], v[22:23], v[46:47], 0
	;; [unrolled: 1-line block ×3, first 2 shown]
	s_delay_alu instid0(VALU_DEP_4) | instskip(NEXT) | instid1(VALU_DEP_4)
	v_fma_f64 v[14:15], v[2:3], v[53:54], v[14:15]
	v_fma_f64 v[8:9], v[2:3], v[44:45], v[8:9]
	s_delay_alu instid0(VALU_DEP_4)
	v_fma_f64 v[10:11], v[2:3], v[46:47], v[10:11]
	s_and_not1_b32 exec_lo, exec_lo, s3
	s_cbranch_execz .LBB1_419
.LBB1_392:                              ; =>This Inner Loop Header: Depth=1
	scratch_load_u8 v54, v52, off
	s_mov_b32 s4, exec_lo
                                        ; implicit-def: $vgpr56
                                        ; implicit-def: $vgpr42
                                        ; implicit-def: $vgpr55
                                        ; implicit-def: $vgpr26
                                        ; implicit-def: $vgpr66
                                        ; implicit-def: $vgpr27
                                        ; implicit-def: $vgpr24
	s_waitcnt vmcnt(0)
	v_lshrrev_b32_e32 v53, 2, v54
	s_delay_alu instid0(VALU_DEP_1)
	v_cmpx_lt_i32_e32 1, v53
	s_xor_b32 s4, exec_lo, s4
	s_cbranch_execz .LBB1_406
; %bb.393:                              ;   in Loop: Header=BB1_392 Depth=1
	s_mov_b32 s5, exec_lo
                                        ; implicit-def: $vgpr56
                                        ; implicit-def: $vgpr42
                                        ; implicit-def: $vgpr55
                                        ; implicit-def: $vgpr26
                                        ; implicit-def: $vgpr66
                                        ; implicit-def: $vgpr27
                                        ; implicit-def: $vgpr24
	v_cmpx_lt_i32_e32 2, v53
	s_xor_b32 s5, exec_lo, s5
	s_cbranch_execz .LBB1_403
; %bb.394:                              ;   in Loop: Header=BB1_392 Depth=1
	s_mov_b32 s6, exec_lo
                                        ; implicit-def: $vgpr56
                                        ; implicit-def: $vgpr42
                                        ; implicit-def: $vgpr55
                                        ; implicit-def: $vgpr26
                                        ; implicit-def: $vgpr66
                                        ; implicit-def: $vgpr27
                                        ; implicit-def: $vgpr24
	v_cmpx_lt_i32_e32 3, v53
	s_xor_b32 s6, exec_lo, s6
	s_cbranch_execz .LBB1_400
; %bb.395:                              ;   in Loop: Header=BB1_392 Depth=1
	s_mov_b32 s7, exec_lo
                                        ; implicit-def: $sgpr8
                                        ; implicit-def: $sgpr9
                                        ; implicit-def: $sgpr10
                                        ; implicit-def: $sgpr11
	v_cmpx_ne_u32_e32 4, v53
	s_xor_b32 s7, exec_lo, s7
; %bb.396:                              ;   in Loop: Header=BB1_392 Depth=1
	s_mov_b32 s11, 4
	s_mov_b32 s10, 6
	;; [unrolled: 1-line block ×4, first 2 shown]
; %bb.397:                              ;   in Loop: Header=BB1_392 Depth=1
	s_or_saveexec_b32 s7, s7
	v_dual_mov_b32 v56, s8 :: v_dual_mov_b32 v55, s9
	v_dual_mov_b32 v66, s10 :: v_dual_mov_b32 v53, s11
	;; [unrolled: 1-line block ×3, first 2 shown]
	v_mov_b32_e32 v26, v63
	v_mov_b32_e32 v24, v62
	s_xor_b32 exec_lo, exec_lo, s7
; %bb.398:                              ;   in Loop: Header=BB1_392 Depth=1
	v_dual_mov_b32 v24, 0xf0 :: v_dual_mov_b32 v55, 3
	v_dual_mov_b32 v56, 2 :: v_dual_mov_b32 v53, 0
	;; [unrolled: 1-line block ×3, first 2 shown]
	v_mov_b32_e32 v42, v58
	v_mov_b32_e32 v26, v61
; %bb.399:                              ;   in Loop: Header=BB1_392 Depth=1
	s_or_b32 exec_lo, exec_lo, s7
.LBB1_400:                              ;   in Loop: Header=BB1_392 Depth=1
	s_and_not1_saveexec_b32 s6, s6
; %bb.401:                              ;   in Loop: Header=BB1_392 Depth=1
	v_dual_mov_b32 v56, 6 :: v_dual_mov_b32 v55, 7
	v_dual_mov_b32 v66, 3 :: v_dual_mov_b32 v53, 2
	;; [unrolled: 1-line block ×3, first 2 shown]
	v_mov_b32_e32 v26, v63
	v_mov_b32_e32 v24, v58
; %bb.402:                              ;   in Loop: Header=BB1_392 Depth=1
	s_or_b32 exec_lo, exec_lo, s6
.LBB1_403:                              ;   in Loop: Header=BB1_392 Depth=1
	s_and_not1_saveexec_b32 s5, s5
; %bb.404:                              ;   in Loop: Header=BB1_392 Depth=1
	v_dual_mov_b32 v24, 0xf0 :: v_dual_mov_b32 v55, 5
	v_dual_mov_b32 v56, 1 :: v_dual_mov_b32 v53, 0
	;; [unrolled: 1-line block ×3, first 2 shown]
	v_mov_b32_e32 v42, v60
	v_mov_b32_e32 v26, v57
; %bb.405:                              ;   in Loop: Header=BB1_392 Depth=1
	s_or_b32 exec_lo, exec_lo, s5
.LBB1_406:                              ;   in Loop: Header=BB1_392 Depth=1
	s_and_not1_saveexec_b32 s4, s4
	s_cbranch_execz .LBB1_410
; %bb.407:                              ;   in Loop: Header=BB1_392 Depth=1
	v_dual_mov_b32 v24, 0xf0 :: v_dual_mov_b32 v55, 6
	v_dual_mov_b32 v56, 4 :: v_dual_mov_b32 v27, v58
	v_mov_b32_e32 v66, 2
	v_mov_b32_e32 v42, v62
	v_mov_b32_e32 v26, v59
	s_mov_b32 s5, exec_lo
	v_cmpx_lt_i32_e32 0, v53
; %bb.408:                              ;   in Loop: Header=BB1_392 Depth=1
	v_dual_mov_b32 v56, 3 :: v_dual_mov_b32 v55, 7
	v_dual_mov_b32 v66, 5 :: v_dual_mov_b32 v53, 1
	v_mov_b32_e32 v42, v61
	v_dual_mov_b32 v26, v63 :: v_dual_mov_b32 v27, v57
	v_mov_b32_e32 v24, v60
; %bb.409:                              ;   in Loop: Header=BB1_392 Depth=1
	s_or_b32 exec_lo, exec_lo, s5
.LBB1_410:                              ;   in Loop: Header=BB1_392 Depth=1
	s_delay_alu instid0(SALU_CYCLE_1)
	s_or_b32 exec_lo, exec_lo, s4
	v_lshl_add_u32 v44, v53, 3, v64
	v_lshl_add_u32 v45, v66, 3, v64
	;; [unrolled: 1-line block ×4, first 2 shown]
	scratch_load_b64 v[24:25], v24, off
	scratch_load_b64 v[40:41], v27, off
	;; [unrolled: 1-line block ×4, first 2 shown]
	s_clause 0x3
	scratch_load_b64 v[46:47], v44, off
	scratch_load_b64 v[50:51], v45, off
	;; [unrolled: 1-line block ×4, first 2 shown]
	v_and_b32_e32 v67, 3, v54
	s_mov_b32 s4, exec_lo
                                        ; implicit-def: $vgpr54
	s_delay_alu instid0(VALU_DEP_1)
	v_cmpx_lt_i32_e32 1, v67
	s_xor_b32 s4, exec_lo, s4
	s_cbranch_execz .LBB1_416
; %bb.411:                              ;   in Loop: Header=BB1_392 Depth=1
	s_mov_b32 s5, exec_lo
	v_cmpx_lt_i32_e32 2, v67
	s_xor_b32 s5, exec_lo, s5
; %bb.412:                              ;   in Loop: Header=BB1_392 Depth=1
                                        ; implicit-def: $vgpr55
; %bb.413:                              ;   in Loop: Header=BB1_392 Depth=1
	s_delay_alu instid0(SALU_CYCLE_1)
	s_or_saveexec_b32 s5, s5
	v_mov_b32_e32 v54, v56
	s_xor_b32 exec_lo, exec_lo, s5
; %bb.414:                              ;   in Loop: Header=BB1_392 Depth=1
	v_dual_mov_b32 v54, v55 :: v_dual_mov_b32 v53, v56
; %bb.415:                              ;   in Loop: Header=BB1_392 Depth=1
	s_or_b32 exec_lo, exec_lo, s5
                                        ; implicit-def: $vgpr66
                                        ; implicit-def: $vgpr55
                                        ; implicit-def: $vgpr67
.LBB1_416:                              ;   in Loop: Header=BB1_392 Depth=1
	s_and_not1_saveexec_b32 s4, s4
	s_cbranch_execz .LBB1_391
; %bb.417:                              ;   in Loop: Header=BB1_392 Depth=1
	s_mov_b32 s5, exec_lo
	v_cmpx_eq_u32_e32 1, v67
	s_cbranch_execz .LBB1_390
; %bb.418:                              ;   in Loop: Header=BB1_392 Depth=1
	v_dual_mov_b32 v53, v66 :: v_dual_mov_b32 v66, v55
	s_branch .LBB1_390
.LBB1_419:
	s_or_b32 exec_lo, exec_lo, s3
	v_mul_f64 v[16:17], v[30:31], v[26:27]
	ds_store_2addr_b64 v65, v[24:25], v[16:17] offset0:1 offset1:11
	ds_store_b64 v65, v[34:35] offset:168
.LBB1_420:
	s_or_b32 exec_lo, exec_lo, s2
	scratch_load_b32 v17, off, off
	s_waitcnt vmcnt(0)
	v_and_b32_e32 v16, 1, v17
	s_delay_alu instid0(VALU_DEP_1)
	v_cmp_eq_u32_e32 vcc_lo, 1, v16
	v_mov_b32_e32 v16, 0
	s_and_saveexec_b32 s0, vcc_lo
	s_cbranch_execz .LBB1_422
; %bb.421:
	v_mov_b32_e32 v18, 0
	v_mov_b32_e32 v16, 1
	scratch_store_b8 off, v18, off offset:16
.LBB1_422:
	s_or_b32 exec_lo, exec_lo, s0
	v_and_b32_e32 v18, 2, v17
	s_mov_b32 s0, exec_lo
	s_delay_alu instid0(VALU_DEP_1)
	v_cmpx_ne_u32_e32 0, v18
	s_cbranch_execz .LBB1_424
; %bb.423:
	v_add_nc_u32_e32 v18, 1, v16
	v_or_b32_e32 v19, 16, v16
	v_mov_b32_e32 v20, 1
	s_delay_alu instid0(VALU_DEP_3)
	v_mov_b32_e32 v16, v18
	scratch_store_b8 v19, v20, off
.LBB1_424:
	s_or_b32 exec_lo, exec_lo, s0
	v_and_b32_e32 v18, 4, v17
	s_mov_b32 s0, exec_lo
	s_delay_alu instid0(VALU_DEP_1)
	v_cmpx_ne_u32_e32 0, v18
	s_cbranch_execz .LBB1_426
; %bb.425:
	v_add_nc_u32_e32 v18, 1, v16
	v_or_b32_e32 v19, 16, v16
	v_mov_b32_e32 v20, 2
	s_delay_alu instid0(VALU_DEP_3)
	v_mov_b32_e32 v16, v18
	scratch_store_b8 v19, v20, off
.LBB1_426:
	;; [unrolled: 14-line block ×4, first 2 shown]
	s_or_b32 exec_lo, exec_lo, s0
	v_and_b32_e32 v18, 32, v17
	s_mov_b32 s0, exec_lo
	s_delay_alu instid0(VALU_DEP_1)
	v_cmpx_ne_u32_e32 0, v18
	s_cbranch_execz .LBB1_432
; %bb.431:
	v_dual_mov_b32 v18, 5 :: v_dual_add_nc_u32 v19, 1, v16
	scratch_store_b8 v16, v18, off offset:16
	v_mov_b32_e32 v16, v19
.LBB1_432:
	s_or_b32 exec_lo, exec_lo, s0
	v_and_b32_e32 v18, 64, v17
	s_mov_b32 s0, exec_lo
	s_delay_alu instid0(VALU_DEP_1)
	v_cmpx_ne_u32_e32 0, v18
	s_cbranch_execz .LBB1_434
; %bb.433:
	v_dual_mov_b32 v18, 6 :: v_dual_add_nc_u32 v19, 1, v16
	scratch_store_b8 v16, v18, off offset:16
	v_mov_b32_e32 v16, v19
.LBB1_434:
	;; [unrolled: 11-line block ×19, first 2 shown]
	s_or_b32 exec_lo, exec_lo, s0
	s_mov_b32 s3, 0
	s_mov_b32 s2, exec_lo
	s_delay_alu instid0(VALU_DEP_1)
	v_cmpx_ne_u32_e32 0, v16
	s_cbranch_execz .LBB1_500
; %bb.469:
	v_dual_mov_b32 v17, 0 :: v_dual_mov_b32 v52, 16
	s_mov_b32 s0, 0x55555555
	s_mov_b32 s1, 0x3fd55555
	s_branch .LBB1_472
.LBB1_470:                              ;   in Loop: Header=BB1_472 Depth=1
	s_or_b32 exec_lo, exec_lo, s5
	s_delay_alu instid0(VALU_DEP_1)
	v_dual_mov_b32 v54, v53 :: v_dual_mov_b32 v53, v64
.LBB1_471:                              ;   in Loop: Header=BB1_472 Depth=1
	s_or_b32 exec_lo, exec_lo, s4
	s_delay_alu instid0(VALU_DEP_1) | instskip(NEXT) | instid1(VALU_DEP_2)
	v_lshl_add_u32 v64, v53, 3, 0xf0
	v_lshl_add_u32 v70, v54, 3, 0xf0
	s_waitcnt vmcnt(10)
	v_add_f64 v[18:19], v[18:19], v[20:21]
	s_waitcnt vmcnt(4)
	v_add_f64 v[20:21], v[26:27], v[48:49]
	v_add_co_u32 v16, vcc_lo, v16, -1
	v_add_nc_u32_e32 v53, 64, v64
	v_add_nc_u32_e32 v66, 64, v70
	;; [unrolled: 1-line block ×3, first 2 shown]
	v_add_co_ci_u32_e32 v17, vcc_lo, -1, v17, vcc_lo
	s_clause 0x4
	scratch_load_b64 v[55:56], v53, off
	scratch_load_b64 v[53:54], v64, off
	;; [unrolled: 1-line block ×5, first 2 shown]
	v_add_nc_u32_e32 v64, 0x80, v64
	v_cmp_eq_u64_e32 vcc_lo, 0, v[16:17]
	v_add_nc_u32_e32 v52, 1, v52
	scratch_load_b64 v[72:73], v64, off
	s_or_b32 s3, vcc_lo, s3
	v_add_f64 v[18:19], v[18:19], v[22:23]
	s_waitcnt vmcnt(9)
	v_add_f64 v[22:23], v[46:47], v[42:43]
	v_add_f64 v[20:21], v[20:21], v[34:35]
	s_delay_alu instid0(VALU_DEP_3) | instskip(SKIP_1) | instid1(VALU_DEP_3)
	v_add_f64 v[18:19], v[18:19], v[24:25]
	s_waitcnt vmcnt(6)
	v_add_f64 v[22:23], v[22:23], v[50:51]
	s_delay_alu instid0(VALU_DEP_3) | instskip(NEXT) | instid1(VALU_DEP_3)
	v_add_f64 v[20:21], v[20:21], v[44:45]
	v_fma_f64 v[18:19], 0x3fd00000, v[18:19], -v[0:1]
	s_delay_alu instid0(VALU_DEP_3) | instskip(NEXT) | instid1(VALU_DEP_3)
	v_add_f64 v[22:23], v[22:23], v[40:41]
	v_fma_f64 v[20:21], 0x3fd00000, v[20:21], -v[4:5]
	s_delay_alu instid0(VALU_DEP_3) | instskip(NEXT) | instid1(VALU_DEP_3)
	v_mul_f64 v[18:19], v[32:33], v[18:19]
	v_fma_f64 v[22:23], 0x3fd00000, v[22:23], -v[6:7]
	s_waitcnt vmcnt(4)
	v_add_f64 v[26:27], v[53:54], -v[0:1]
	s_waitcnt vmcnt(3)
	v_add_f64 v[34:35], v[66:67], -v[4:5]
	v_add_f64 v[24:25], v[55:56], -v[4:5]
	s_waitcnt vmcnt(2)
	v_add_f64 v[40:41], v[68:69], -v[6:7]
	s_waitcnt vmcnt(1)
	;; [unrolled: 2-line block ×3, first 2 shown]
	v_add_f64 v[50:51], v[72:73], -v[6:7]
	v_fma_f64 v[44:45], -v[32:33], v[26:27], v[18:19]
	v_mul_f64 v[46:47], v[30:31], v[34:35]
	v_mul_f64 v[24:25], v[30:31], v[24:25]
	v_add_f64 v[53:54], v[22:23], v[40:41]
	v_mul_f64 v[55:56], v[32:33], v[42:43]
	v_fma_f64 v[66:67], v[32:33], v[42:43], v[18:19]
	v_fma_f64 v[42:43], v[32:33], v[42:43], -v[18:19]
	v_fma_f64 v[74:75], v[32:33], v[26:27], v[18:19]
	v_add_f64 v[70:71], v[22:23], v[50:51]
	v_add_f64 v[76:77], v[40:41], v[50:51]
	v_fma_f64 v[68:69], v[30:31], v[20:21], v[46:47]
	v_fma_f64 v[48:49], v[30:31], v[20:21], v[24:25]
	v_mul_f64 v[72:73], v[53:54], 0.5
	v_fma_f64 v[78:79], v[32:33], v[26:27], -v[55:56]
	v_fma_f64 v[66:67], v[36:37], v[66:67], v[0:1]
	v_fma_f64 v[34:35], v[30:31], v[34:35], v[24:25]
	;; [unrolled: 1-line block ×4, first 2 shown]
	v_fma_f64 v[53:54], v[53:54], 0.5, 0
	v_mul_f64 v[84:85], v[76:77], 0.5
	v_mul_f64 v[26:27], v[32:33], v[26:27]
	v_mul_f64 v[44:45], v[44:45], v[48:49]
	v_fma_f64 v[80:81], v[72:73], 0.5, v[6:7]
	v_fma_f64 v[48:49], v[38:39], v[48:49], v[4:5]
	v_fma_f64 v[66:67], v[66:67], v[72:73], 0
	v_fma_f64 v[53:54], v[70:71], 0.5, v[53:54]
	ds_store_2addr_b64 v65, v[55:56], v[26:27] offset1:2
	ds_store_2addr_b64 v65, v[46:47], v[24:25] offset0:10 offset1:12
	ds_store_2addr_b64 v65, v[40:41], v[50:51] offset0:20 offset1:22
	v_fma_f64 v[42:43], v[42:43], v[68:69], v[44:45]
	v_mul_f64 v[44:45], v[70:71], 0.5
	v_fma_f64 v[68:69], v[38:39], v[68:69], v[4:5]
	v_fma_f64 v[70:71], v[84:85], 0.5, v[6:7]
	v_fma_f64 v[53:54], v[76:77], 0.5, v[53:54]
	v_fma_f64 v[42:43], v[78:79], v[34:35], v[42:43]
	v_fma_f64 v[78:79], v[44:45], 0.5, v[6:7]
	v_fma_f64 v[68:69], v[68:69], v[72:73], 0
	v_fma_f64 v[72:73], v[72:73], v[80:81], 0
	;; [unrolled: 1-line block ×5, first 2 shown]
	v_mul_f64 v[42:43], v[42:43], 0.5
	v_fma_f64 v[48:49], v[48:49], v[44:45], v[68:69]
	v_fma_f64 v[44:45], v[44:45], v[78:79], v[72:73]
	s_delay_alu instid0(VALU_DEP_4) | instskip(NEXT) | instid1(VALU_DEP_4)
	v_fma_f64 v[66:67], v[80:81], v[84:85], v[66:67]
	v_mul_f64 v[42:43], v[42:43], s[0:1]
	s_delay_alu instid0(VALU_DEP_4) | instskip(NEXT) | instid1(VALU_DEP_4)
	v_fma_f64 v[34:35], v[34:35], v[84:85], v[48:49]
	v_fma_f64 v[44:45], v[84:85], v[70:71], v[44:45]
	s_delay_alu instid0(VALU_DEP_3) | instskip(SKIP_1) | instid1(VALU_DEP_4)
	v_fma_f64 v[48:49], v[42:43], v[53:54], 0
	v_fma_f64 v[53:54], v[42:43], v[66:67], 0
	;; [unrolled: 1-line block ×3, first 2 shown]
	s_delay_alu instid0(VALU_DEP_4) | instskip(NEXT) | instid1(VALU_DEP_4)
	v_fma_f64 v[42:43], v[42:43], v[44:45], 0
	v_fma_f64 v[12:13], v[2:3], v[48:49], v[12:13]
	s_delay_alu instid0(VALU_DEP_4) | instskip(NEXT) | instid1(VALU_DEP_4)
	v_fma_f64 v[14:15], v[2:3], v[53:54], v[14:15]
	v_fma_f64 v[8:9], v[2:3], v[34:35], v[8:9]
	s_delay_alu instid0(VALU_DEP_4)
	v_fma_f64 v[10:11], v[2:3], v[42:43], v[10:11]
	s_and_not1_b32 exec_lo, exec_lo, s3
	s_cbranch_execz .LBB1_499
.LBB1_472:                              ; =>This Inner Loop Header: Depth=1
	scratch_load_u8 v54, v52, off
	s_mov_b32 s4, exec_lo
                                        ; implicit-def: $vgpr56
                                        ; implicit-def: $vgpr24
                                        ; implicit-def: $vgpr55
                                        ; implicit-def: $vgpr22
                                        ; implicit-def: $vgpr64
                                        ; implicit-def: $vgpr20
                                        ; implicit-def: $vgpr18
	s_waitcnt vmcnt(0)
	v_lshrrev_b32_e32 v53, 2, v54
	s_delay_alu instid0(VALU_DEP_1)
	v_cmpx_lt_i32_e32 1, v53
	s_xor_b32 s4, exec_lo, s4
	s_cbranch_execz .LBB1_486
; %bb.473:                              ;   in Loop: Header=BB1_472 Depth=1
	s_mov_b32 s5, exec_lo
                                        ; implicit-def: $vgpr56
                                        ; implicit-def: $vgpr24
                                        ; implicit-def: $vgpr55
                                        ; implicit-def: $vgpr22
                                        ; implicit-def: $vgpr64
                                        ; implicit-def: $vgpr20
                                        ; implicit-def: $vgpr18
	v_cmpx_lt_i32_e32 2, v53
	s_xor_b32 s5, exec_lo, s5
	s_cbranch_execz .LBB1_483
; %bb.474:                              ;   in Loop: Header=BB1_472 Depth=1
	s_mov_b32 s6, exec_lo
                                        ; implicit-def: $vgpr56
                                        ; implicit-def: $vgpr24
                                        ; implicit-def: $vgpr55
                                        ; implicit-def: $vgpr22
                                        ; implicit-def: $vgpr64
                                        ; implicit-def: $vgpr20
                                        ; implicit-def: $vgpr18
	v_cmpx_lt_i32_e32 3, v53
	s_xor_b32 s6, exec_lo, s6
	s_cbranch_execz .LBB1_480
; %bb.475:                              ;   in Loop: Header=BB1_472 Depth=1
	s_mov_b32 s7, exec_lo
                                        ; implicit-def: $sgpr8
                                        ; implicit-def: $sgpr9
                                        ; implicit-def: $sgpr10
                                        ; implicit-def: $sgpr11
	v_cmpx_ne_u32_e32 4, v53
	s_xor_b32 s7, exec_lo, s7
; %bb.476:                              ;   in Loop: Header=BB1_472 Depth=1
	s_mov_b32 s11, 4
	s_mov_b32 s10, 6
	;; [unrolled: 1-line block ×4, first 2 shown]
; %bb.477:                              ;   in Loop: Header=BB1_472 Depth=1
	s_or_saveexec_b32 s7, s7
	v_dual_mov_b32 v56, s8 :: v_dual_mov_b32 v55, s9
	v_dual_mov_b32 v64, s10 :: v_dual_mov_b32 v53, s11
	v_mov_b32_e32 v24, v57
	v_mov_b32_e32 v22, v63
	;; [unrolled: 1-line block ×4, first 2 shown]
	s_xor_b32 exec_lo, exec_lo, s7
; %bb.478:                              ;   in Loop: Header=BB1_472 Depth=1
	v_dual_mov_b32 v18, 0xf0 :: v_dual_mov_b32 v55, 3
	v_dual_mov_b32 v56, 2 :: v_dual_mov_b32 v53, 0
	v_mov_b32_e32 v64, 1
	v_mov_b32_e32 v24, v58
	;; [unrolled: 1-line block ×4, first 2 shown]
; %bb.479:                              ;   in Loop: Header=BB1_472 Depth=1
	s_or_b32 exec_lo, exec_lo, s7
.LBB1_480:                              ;   in Loop: Header=BB1_472 Depth=1
	s_and_not1_saveexec_b32 s6, s6
; %bb.481:                              ;   in Loop: Header=BB1_472 Depth=1
	v_dual_mov_b32 v56, 6 :: v_dual_mov_b32 v55, 7
	v_dual_mov_b32 v64, 3 :: v_dual_mov_b32 v53, 2
	v_mov_b32_e32 v24, v59
	v_mov_b32_e32 v22, v63
	;; [unrolled: 1-line block ×4, first 2 shown]
; %bb.482:                              ;   in Loop: Header=BB1_472 Depth=1
	s_or_b32 exec_lo, exec_lo, s6
.LBB1_483:                              ;   in Loop: Header=BB1_472 Depth=1
	s_and_not1_saveexec_b32 s5, s5
; %bb.484:                              ;   in Loop: Header=BB1_472 Depth=1
	v_dual_mov_b32 v18, 0xf0 :: v_dual_mov_b32 v55, 5
	v_dual_mov_b32 v56, 1 :: v_dual_mov_b32 v53, 0
	v_mov_b32_e32 v64, 4
	v_mov_b32_e32 v24, v60
	;; [unrolled: 1-line block ×4, first 2 shown]
; %bb.485:                              ;   in Loop: Header=BB1_472 Depth=1
	s_or_b32 exec_lo, exec_lo, s5
.LBB1_486:                              ;   in Loop: Header=BB1_472 Depth=1
	s_and_not1_saveexec_b32 s4, s4
	s_cbranch_execz .LBB1_490
; %bb.487:                              ;   in Loop: Header=BB1_472 Depth=1
	v_dual_mov_b32 v18, 0xf0 :: v_dual_mov_b32 v55, 6
	v_mov_b32_e32 v56, 4
	v_mov_b32_e32 v64, 2
	v_mov_b32_e32 v24, v62
	v_mov_b32_e32 v22, v59
	v_mov_b32_e32 v20, v58
	s_mov_b32 s5, exec_lo
	v_cmpx_lt_i32_e32 0, v53
; %bb.488:                              ;   in Loop: Header=BB1_472 Depth=1
	v_dual_mov_b32 v56, 3 :: v_dual_mov_b32 v55, 7
	v_dual_mov_b32 v64, 5 :: v_dual_mov_b32 v53, 1
	v_mov_b32_e32 v24, v61
	v_mov_b32_e32 v22, v63
	;; [unrolled: 1-line block ×4, first 2 shown]
; %bb.489:                              ;   in Loop: Header=BB1_472 Depth=1
	s_or_b32 exec_lo, exec_lo, s5
.LBB1_490:                              ;   in Loop: Header=BB1_472 Depth=1
	s_delay_alu instid0(SALU_CYCLE_1)
	s_or_b32 exec_lo, exec_lo, s4
	v_lshl_add_u32 v50, v55, 3, 0xf0
	v_lshl_add_u32 v40, v53, 3, 0xf0
	;; [unrolled: 1-line block ×4, first 2 shown]
	scratch_load_b64 v[18:19], v18, off
	scratch_load_b64 v[20:21], v20, off
	;; [unrolled: 1-line block ×4, first 2 shown]
	s_clause 0x7
	scratch_load_b64 v[26:27], v40, off offset:64
	scratch_load_b64 v[34:35], v50, off offset:64
	;; [unrolled: 1-line block ×8, first 2 shown]
	v_and_b32_e32 v66, 3, v54
	s_mov_b32 s4, exec_lo
                                        ; implicit-def: $vgpr54
	s_delay_alu instid0(VALU_DEP_1)
	v_cmpx_lt_i32_e32 1, v66
	s_xor_b32 s4, exec_lo, s4
	s_cbranch_execz .LBB1_496
; %bb.491:                              ;   in Loop: Header=BB1_472 Depth=1
	s_mov_b32 s5, exec_lo
	v_cmpx_lt_i32_e32 2, v66
	s_xor_b32 s5, exec_lo, s5
; %bb.492:                              ;   in Loop: Header=BB1_472 Depth=1
                                        ; implicit-def: $vgpr55
; %bb.493:                              ;   in Loop: Header=BB1_472 Depth=1
	s_delay_alu instid0(SALU_CYCLE_1)
	s_or_saveexec_b32 s5, s5
	v_mov_b32_e32 v54, v56
	s_xor_b32 exec_lo, exec_lo, s5
; %bb.494:                              ;   in Loop: Header=BB1_472 Depth=1
	v_dual_mov_b32 v54, v55 :: v_dual_mov_b32 v53, v56
; %bb.495:                              ;   in Loop: Header=BB1_472 Depth=1
	s_or_b32 exec_lo, exec_lo, s5
                                        ; implicit-def: $vgpr64
                                        ; implicit-def: $vgpr55
                                        ; implicit-def: $vgpr66
.LBB1_496:                              ;   in Loop: Header=BB1_472 Depth=1
	s_and_not1_saveexec_b32 s4, s4
	s_cbranch_execz .LBB1_471
; %bb.497:                              ;   in Loop: Header=BB1_472 Depth=1
	s_mov_b32 s5, exec_lo
	v_cmpx_eq_u32_e32 1, v66
	s_cbranch_execz .LBB1_470
; %bb.498:                              ;   in Loop: Header=BB1_472 Depth=1
	v_dual_mov_b32 v53, v64 :: v_dual_mov_b32 v64, v55
	s_branch .LBB1_470
.LBB1_499:
	s_or_b32 exec_lo, exec_lo, s3
	v_mul_f64 v[0:1], v[30:31], v[20:21]
	ds_store_2addr_b64 v65, v[18:19], v[0:1] offset0:1 offset1:11
	ds_store_b64 v65, v[22:23] offset:168
.LBB1_500:
	s_or_b32 exec_lo, exec_lo, s2
	v_lshlrev_b64 v[0:1], 5, v[28:29]
	s_delay_alu instid0(VALU_DEP_1) | instskip(NEXT) | instid1(VALU_DEP_2)
	v_add_co_u32 v0, vcc_lo, s12, v0
	v_add_co_ci_u32_e32 v1, vcc_lo, s13, v1, vcc_lo
	s_clause 0x1
	global_store_b128 v[0:1], v[12:15], off
	global_store_b128 v[0:1], v[8:11], off offset:16
.LBB1_501:
	s_endpgm
	.section	.rodata,"a",@progbits
	.p2align	6, 0x0
	.amdhsa_kernel _ZN8rajaperf17lambda_hip_forallILm64EZNS_4apps13INTSC_HEXRECT17runHipVariantImplILm64EEEvNS_9VariantIDEEUllE_EEvllT0_
		.amdhsa_group_segment_fixed_size 15872
		.amdhsa_private_segment_fixed_size 448
		.amdhsa_kernarg_size 88
		.amdhsa_user_sgpr_count 15
		.amdhsa_user_sgpr_dispatch_ptr 0
		.amdhsa_user_sgpr_queue_ptr 0
		.amdhsa_user_sgpr_kernarg_segment_ptr 1
		.amdhsa_user_sgpr_dispatch_id 0
		.amdhsa_user_sgpr_private_segment_size 0
		.amdhsa_wavefront_size32 1
		.amdhsa_uses_dynamic_stack 0
		.amdhsa_enable_private_segment 1
		.amdhsa_system_sgpr_workgroup_id_x 1
		.amdhsa_system_sgpr_workgroup_id_y 0
		.amdhsa_system_sgpr_workgroup_id_z 0
		.amdhsa_system_sgpr_workgroup_info 0
		.amdhsa_system_vgpr_workitem_id 0
		.amdhsa_next_free_vgpr 112
		.amdhsa_next_free_sgpr 28
		.amdhsa_reserve_vcc 1
		.amdhsa_float_round_mode_32 0
		.amdhsa_float_round_mode_16_64 0
		.amdhsa_float_denorm_mode_32 3
		.amdhsa_float_denorm_mode_16_64 3
		.amdhsa_dx10_clamp 1
		.amdhsa_ieee_mode 1
		.amdhsa_fp16_overflow 0
		.amdhsa_workgroup_processor_mode 1
		.amdhsa_memory_ordered 1
		.amdhsa_forward_progress 0
		.amdhsa_shared_vgpr_count 0
		.amdhsa_exception_fp_ieee_invalid_op 0
		.amdhsa_exception_fp_denorm_src 0
		.amdhsa_exception_fp_ieee_div_zero 0
		.amdhsa_exception_fp_ieee_overflow 0
		.amdhsa_exception_fp_ieee_underflow 0
		.amdhsa_exception_fp_ieee_inexact 0
		.amdhsa_exception_int_div_zero 0
	.end_amdhsa_kernel
	.section	.text._ZN8rajaperf17lambda_hip_forallILm64EZNS_4apps13INTSC_HEXRECT17runHipVariantImplILm64EEEvNS_9VariantIDEEUllE_EEvllT0_,"axG",@progbits,_ZN8rajaperf17lambda_hip_forallILm64EZNS_4apps13INTSC_HEXRECT17runHipVariantImplILm64EEEvNS_9VariantIDEEUllE_EEvllT0_,comdat
.Lfunc_end1:
	.size	_ZN8rajaperf17lambda_hip_forallILm64EZNS_4apps13INTSC_HEXRECT17runHipVariantImplILm64EEEvNS_9VariantIDEEUllE_EEvllT0_, .Lfunc_end1-_ZN8rajaperf17lambda_hip_forallILm64EZNS_4apps13INTSC_HEXRECT17runHipVariantImplILm64EEEvNS_9VariantIDEEUllE_EEvllT0_
                                        ; -- End function
	.section	.AMDGPU.csdata,"",@progbits
; Kernel info:
; codeLenInByte = 24056
; NumSgprs: 30
; NumVgprs: 112
; ScratchSize: 448
; MemoryBound: 0
; FloatMode: 240
; IeeeMode: 1
; LDSByteSize: 15872 bytes/workgroup (compile time only)
; SGPRBlocks: 3
; VGPRBlocks: 13
; NumSGPRsForWavesPerEU: 30
; NumVGPRsForWavesPerEU: 112
; Occupancy: 4
; WaveLimiterHint : 1
; COMPUTE_PGM_RSRC2:SCRATCH_EN: 1
; COMPUTE_PGM_RSRC2:USER_SGPR: 15
; COMPUTE_PGM_RSRC2:TRAP_HANDLER: 0
; COMPUTE_PGM_RSRC2:TGID_X_EN: 1
; COMPUTE_PGM_RSRC2:TGID_Y_EN: 0
; COMPUTE_PGM_RSRC2:TGID_Z_EN: 0
; COMPUTE_PGM_RSRC2:TIDIG_COMP_CNT: 0
	.section	.text._ZN4RAJA6policy3hip4impl18forallp_hip_kernelINS1_8hip_execINS_17iteration_mapping6DirectENS_3hip11IndexGlobalILNS_9named_dimE0ELi64ELi0EEENS7_40AvoidDeviceMaxThreadOccupancyConcretizerINS7_34FractionOffsetOccupancyConcretizerINS_8FractionImLm1ELm1EEELln1EEEEELb1EEENS_9Iterators16numeric_iteratorIllPlEEZN8rajaperf4apps13INTSC_HEXRECT17runHipVariantImplILm64EEEvNSM_9VariantIDEEUllE0_lNS_4expt15ForallParamPackIJEEES6_SA_TnNSt9enable_ifIXaasr3std10is_base_ofINS5_10DirectBaseET4_EE5valuegtsrT5_10block_sizeLi0EEmE4typeELm64EEEvT1_T0_T2_T3_,"axG",@progbits,_ZN4RAJA6policy3hip4impl18forallp_hip_kernelINS1_8hip_execINS_17iteration_mapping6DirectENS_3hip11IndexGlobalILNS_9named_dimE0ELi64ELi0EEENS7_40AvoidDeviceMaxThreadOccupancyConcretizerINS7_34FractionOffsetOccupancyConcretizerINS_8FractionImLm1ELm1EEELln1EEEEELb1EEENS_9Iterators16numeric_iteratorIllPlEEZN8rajaperf4apps13INTSC_HEXRECT17runHipVariantImplILm64EEEvNSM_9VariantIDEEUllE0_lNS_4expt15ForallParamPackIJEEES6_SA_TnNSt9enable_ifIXaasr3std10is_base_ofINS5_10DirectBaseET4_EE5valuegtsrT5_10block_sizeLi0EEmE4typeELm64EEEvT1_T0_T2_T3_,comdat
	.protected	_ZN4RAJA6policy3hip4impl18forallp_hip_kernelINS1_8hip_execINS_17iteration_mapping6DirectENS_3hip11IndexGlobalILNS_9named_dimE0ELi64ELi0EEENS7_40AvoidDeviceMaxThreadOccupancyConcretizerINS7_34FractionOffsetOccupancyConcretizerINS_8FractionImLm1ELm1EEELln1EEEEELb1EEENS_9Iterators16numeric_iteratorIllPlEEZN8rajaperf4apps13INTSC_HEXRECT17runHipVariantImplILm64EEEvNSM_9VariantIDEEUllE0_lNS_4expt15ForallParamPackIJEEES6_SA_TnNSt9enable_ifIXaasr3std10is_base_ofINS5_10DirectBaseET4_EE5valuegtsrT5_10block_sizeLi0EEmE4typeELm64EEEvT1_T0_T2_T3_ ; -- Begin function _ZN4RAJA6policy3hip4impl18forallp_hip_kernelINS1_8hip_execINS_17iteration_mapping6DirectENS_3hip11IndexGlobalILNS_9named_dimE0ELi64ELi0EEENS7_40AvoidDeviceMaxThreadOccupancyConcretizerINS7_34FractionOffsetOccupancyConcretizerINS_8FractionImLm1ELm1EEELln1EEEEELb1EEENS_9Iterators16numeric_iteratorIllPlEEZN8rajaperf4apps13INTSC_HEXRECT17runHipVariantImplILm64EEEvNSM_9VariantIDEEUllE0_lNS_4expt15ForallParamPackIJEEES6_SA_TnNSt9enable_ifIXaasr3std10is_base_ofINS5_10DirectBaseET4_EE5valuegtsrT5_10block_sizeLi0EEmE4typeELm64EEEvT1_T0_T2_T3_
	.globl	_ZN4RAJA6policy3hip4impl18forallp_hip_kernelINS1_8hip_execINS_17iteration_mapping6DirectENS_3hip11IndexGlobalILNS_9named_dimE0ELi64ELi0EEENS7_40AvoidDeviceMaxThreadOccupancyConcretizerINS7_34FractionOffsetOccupancyConcretizerINS_8FractionImLm1ELm1EEELln1EEEEELb1EEENS_9Iterators16numeric_iteratorIllPlEEZN8rajaperf4apps13INTSC_HEXRECT17runHipVariantImplILm64EEEvNSM_9VariantIDEEUllE0_lNS_4expt15ForallParamPackIJEEES6_SA_TnNSt9enable_ifIXaasr3std10is_base_ofINS5_10DirectBaseET4_EE5valuegtsrT5_10block_sizeLi0EEmE4typeELm64EEEvT1_T0_T2_T3_
	.p2align	8
	.type	_ZN4RAJA6policy3hip4impl18forallp_hip_kernelINS1_8hip_execINS_17iteration_mapping6DirectENS_3hip11IndexGlobalILNS_9named_dimE0ELi64ELi0EEENS7_40AvoidDeviceMaxThreadOccupancyConcretizerINS7_34FractionOffsetOccupancyConcretizerINS_8FractionImLm1ELm1EEELln1EEEEELb1EEENS_9Iterators16numeric_iteratorIllPlEEZN8rajaperf4apps13INTSC_HEXRECT17runHipVariantImplILm64EEEvNSM_9VariantIDEEUllE0_lNS_4expt15ForallParamPackIJEEES6_SA_TnNSt9enable_ifIXaasr3std10is_base_ofINS5_10DirectBaseET4_EE5valuegtsrT5_10block_sizeLi0EEmE4typeELm64EEEvT1_T0_T2_T3_,@function
_ZN4RAJA6policy3hip4impl18forallp_hip_kernelINS1_8hip_execINS_17iteration_mapping6DirectENS_3hip11IndexGlobalILNS_9named_dimE0ELi64ELi0EEENS7_40AvoidDeviceMaxThreadOccupancyConcretizerINS7_34FractionOffsetOccupancyConcretizerINS_8FractionImLm1ELm1EEELln1EEEEELb1EEENS_9Iterators16numeric_iteratorIllPlEEZN8rajaperf4apps13INTSC_HEXRECT17runHipVariantImplILm64EEEvNSM_9VariantIDEEUllE0_lNS_4expt15ForallParamPackIJEEES6_SA_TnNSt9enable_ifIXaasr3std10is_base_ofINS5_10DirectBaseET4_EE5valuegtsrT5_10block_sizeLi0EEmE4typeELm64EEEvT1_T0_T2_T3_: ; @_ZN4RAJA6policy3hip4impl18forallp_hip_kernelINS1_8hip_execINS_17iteration_mapping6DirectENS_3hip11IndexGlobalILNS_9named_dimE0ELi64ELi0EEENS7_40AvoidDeviceMaxThreadOccupancyConcretizerINS7_34FractionOffsetOccupancyConcretizerINS_8FractionImLm1ELm1EEELln1EEEEELb1EEENS_9Iterators16numeric_iteratorIllPlEEZN8rajaperf4apps13INTSC_HEXRECT17runHipVariantImplILm64EEEvNSM_9VariantIDEEUllE0_lNS_4expt15ForallParamPackIJEEES6_SA_TnNSt9enable_ifIXaasr3std10is_base_ofINS5_10DirectBaseET4_EE5valuegtsrT5_10block_sizeLi0EEmE4typeELm64EEEvT1_T0_T2_T3_
; %bb.0:
	s_load_b128 s[4:7], s[0:1], 0x48
	s_mov_b32 s2, s15
	s_mov_b32 s3, 0
	s_delay_alu instid0(SALU_CYCLE_1) | instskip(NEXT) | instid1(SALU_CYCLE_1)
	s_lshl_b64 s[2:3], s[2:3], 6
	v_or_b32_e32 v0, s2, v0
	v_mov_b32_e32 v1, s3
	s_mov_b32 s2, exec_lo
	s_waitcnt lgkmcnt(0)
	s_delay_alu instid0(VALU_DEP_1)
	v_cmpx_gt_i64_e64 s[6:7], v[0:1]
	s_cbranch_execz .LBB2_501
; %bb.1:
	s_load_b64 s[2:3], s[0:1], 0x0
	v_add_co_u32 v28, vcc_lo, v0, s4
	v_add_co_ci_u32_e32 v29, vcc_lo, s5, v1, vcc_lo
	s_waitcnt lgkmcnt(0)
	s_delay_alu instid0(VALU_DEP_1)
	v_cmp_gt_i64_e32 vcc_lo, s[2:3], v[28:29]
	s_and_b32 exec_lo, exec_lo, vcc_lo
	s_cbranch_execz .LBB2_501
; %bb.2:
	s_load_b512 s[12:27], s[0:1], 0x8
	v_lshlrev_b64 v[8:9], 2, v[28:29]
	s_mov_b32 s11, 0
	s_waitcnt lgkmcnt(0)
	s_delay_alu instid0(VALU_DEP_1) | instskip(NEXT) | instid1(VALU_DEP_2)
	v_add_co_u32 v0, vcc_lo, s14, v8
	v_add_co_ci_u32_e32 v1, vcc_lo, s15, v9, vcc_lo
	s_mov_b64 s[14:15], 0
	global_load_b32 v0, v[0:1], off
	s_waitcnt vmcnt(0)
	v_lshlrev_b32_e32 v0, 3, v0
	s_delay_alu instid0(VALU_DEP_1) | instskip(NEXT) | instid1(VALU_DEP_1)
	v_ashrrev_i32_e32 v1, 31, v0
	v_lshlrev_b64 v[0:1], 2, v[0:1]
	s_delay_alu instid0(VALU_DEP_1) | instskip(NEXT) | instid1(VALU_DEP_2)
	v_add_co_u32 v4, vcc_lo, s16, v0
	v_add_co_ci_u32_e32 v5, vcc_lo, s17, v1, vcc_lo
	v_add_co_u32 v8, vcc_lo, s26, v8
	v_add_co_ci_u32_e32 v9, vcc_lo, s27, v9, vcc_lo
	s_clause 0x1
	global_load_b128 v[0:3], v[4:5], off
	global_load_b128 v[4:7], v[4:5], off offset:16
	global_load_b32 v64, v[8:9], off
	s_waitcnt vmcnt(2)
	v_ashrrev_i32_e32 v9, 31, v0
	v_mov_b32_e32 v8, v0
	v_ashrrev_i32_e32 v11, 31, v1
	v_mov_b32_e32 v10, v1
	;; [unrolled: 2-line block ×4, first 2 shown]
	s_waitcnt vmcnt(1)
	v_ashrrev_i32_e32 v3, 31, v4
	v_mov_b32_e32 v2, v4
	v_ashrrev_i32_e32 v15, 31, v5
	v_mov_b32_e32 v14, v5
	;; [unrolled: 2-line block ×4, first 2 shown]
	v_lshlrev_b64 v[6:7], 3, v[8:9]
	v_lshlrev_b64 v[8:9], 3, v[10:11]
	;; [unrolled: 1-line block ×6, first 2 shown]
	v_add_co_u32 v16, vcc_lo, s18, v6
	v_add_co_ci_u32_e32 v17, vcc_lo, s19, v7, vcc_lo
	v_add_co_u32 v18, vcc_lo, s20, v6
	v_add_co_ci_u32_e32 v19, vcc_lo, s21, v7, vcc_lo
	;; [unrolled: 2-line block ×10, first 2 shown]
	v_lshlrev_b64 v[2:3], 3, v[2:3]
	v_add_co_u32 v36, vcc_lo, s20, v10
	v_add_co_ci_u32_e32 v37, vcc_lo, s21, v11, vcc_lo
	v_add_co_u32 v38, vcc_lo, s22, v10
	v_add_co_ci_u32_e32 v39, vcc_lo, s23, v11, vcc_lo
	;; [unrolled: 2-line block ×6, first 2 shown]
	v_lshlrev_b64 v[4:5], 3, v[4:5]
	v_add_co_u32 v48, vcc_lo, s20, v12
	v_add_co_ci_u32_e32 v49, vcc_lo, s21, v13, vcc_lo
	v_add_co_u32 v50, vcc_lo, s22, v12
	v_add_co_ci_u32_e32 v51, vcc_lo, s23, v13, vcc_lo
	v_add_co_u32 v52, vcc_lo, s18, v4
	v_add_co_ci_u32_e32 v53, vcc_lo, s19, v5, vcc_lo
	v_add_co_u32 v54, vcc_lo, s20, v4
	v_add_co_ci_u32_e32 v55, vcc_lo, s21, v5, vcc_lo
	v_add_co_u32 v56, vcc_lo, s22, v4
	v_add_co_ci_u32_e32 v57, vcc_lo, s23, v5, vcc_lo
	v_add_co_u32 v58, vcc_lo, s18, v14
	v_add_co_ci_u32_e32 v59, vcc_lo, s19, v15, vcc_lo
	v_add_co_u32 v60, vcc_lo, s20, v14
	v_add_co_ci_u32_e32 v61, vcc_lo, s21, v15, vcc_lo
	v_add_co_u32 v62, vcc_lo, s22, v14
	v_add_co_ci_u32_e32 v63, vcc_lo, s23, v15, vcc_lo
	global_load_b64 v[0:1], v[16:17], off
	global_load_b64 v[4:5], v[18:19], off
	;; [unrolled: 1-line block ×18, first 2 shown]
	s_clause 0x1
	global_load_b64 v[38:39], v[52:53], off
	global_load_b64 v[40:41], v[58:59], off
	s_clause 0x1
	global_load_b64 v[42:43], v[54:55], off
	global_load_b64 v[44:45], v[60:61], off
	;; [unrolled: 3-line block ×3, first 2 shown]
	s_clause 0x1
	s_load_b64 s[4:5], s[24:25], 0x4
	s_load_b128 s[0:3], s[24:25], 0x10
	s_waitcnt vmcnt(24)
	v_sub_nc_u32_e32 v52, 0, v64
	v_add_nc_u32_e64 v57, 0xf0, 40
	v_add_nc_u32_e64 v58, 0xf0, 16
	;; [unrolled: 1-line block ×3, first 2 shown]
	v_or_b32_e64 v60, 0xf0, 8
	v_max_i32_e32 v54, v64, v52
	v_add_nc_u32_e64 v61, 0xf0, 24
	v_add_nc_u32_e64 v62, 0xf0, 32
	;; [unrolled: 1-line block ×3, first 2 shown]
	s_waitcnt lgkmcnt(0)
	s_abs_i32 s6, s5
	s_delay_alu instid0(SALU_CYCLE_1) | instskip(SKIP_1) | instid1(VALU_DEP_1)
	v_cvt_f32_u32_e32 v50, s6
	s_sub_i32 s7, 0, s6
	v_rcp_iflag_f32_e32 v50, v50
	s_waitcnt_depctr 0xfff
	v_mul_f32_e32 v50, 0x4f7ffffe, v50
	s_delay_alu instid0(VALU_DEP_1) | instskip(NEXT) | instid1(VALU_DEP_1)
	v_cvt_u32_f32_e32 v50, v50
	v_mul_lo_u32 v51, s7, v50
	s_abs_i32 s7, s4
	s_mul_i32 s4, s5, s4
	v_cvt_f32_u32_e32 v52, s7
	s_delay_alu instid0(VALU_DEP_2) | instskip(NEXT) | instid1(VALU_DEP_2)
	v_mul_hi_u32 v51, v50, v51
	v_rcp_iflag_f32_e32 v52, v52
	s_delay_alu instid0(VALU_DEP_1) | instskip(SKIP_3) | instid1(VALU_DEP_2)
	v_add_nc_u32_e32 v50, v50, v51
	s_waitcnt_depctr 0xfff
	v_mul_f32_e32 v52, 0x4f7ffffe, v52
	v_mul_hi_u32 v50, v54, v50
	v_cvt_u32_f32_e32 v52, v52
	s_delay_alu instid0(VALU_DEP_2) | instskip(SKIP_1) | instid1(VALU_DEP_2)
	v_mul_lo_u32 v51, v50, s6
	v_add_nc_u32_e32 v53, 1, v50
	v_sub_nc_u32_e32 v51, v54, v51
	s_delay_alu instid0(VALU_DEP_1) | instskip(SKIP_1) | instid1(VALU_DEP_2)
	v_subrev_nc_u32_e32 v55, s6, v51
	v_cmp_le_u32_e32 vcc_lo, s6, v51
	v_dual_cndmask_b32 v50, v50, v53 :: v_dual_cndmask_b32 v51, v51, v55
	v_xor_b32_e32 v53, s5, v64
	s_delay_alu instid0(VALU_DEP_2) | instskip(NEXT) | instid1(VALU_DEP_3)
	v_add_nc_u32_e32 v55, 1, v50
	v_cmp_le_u32_e32 vcc_lo, s6, v51
	s_delay_alu instid0(VALU_DEP_3) | instskip(SKIP_1) | instid1(SALU_CYCLE_1)
	v_ashrrev_i32_e32 v53, 31, v53
	s_sub_i32 s6, 0, s7
	v_mul_lo_u32 v51, s6, v52
	v_cndmask_b32_e32 v50, v50, v55, vcc_lo
	s_delay_alu instid0(VALU_DEP_1) | instskip(NEXT) | instid1(VALU_DEP_3)
	v_xor_b32_e32 v50, v50, v53
	v_mul_hi_u32 v51, v52, v51
	s_delay_alu instid0(VALU_DEP_2) | instskip(NEXT) | instid1(VALU_DEP_1)
	v_sub_nc_u32_e32 v50, v50, v53
	v_sub_nc_u32_e32 v53, 0, v50
	s_delay_alu instid0(VALU_DEP_3) | instskip(NEXT) | instid1(VALU_DEP_2)
	v_add_nc_u32_e32 v51, v52, v51
	v_max_i32_e32 v52, v50, v53
	v_ashrrev_i32_e32 v53, 31, v50
	v_mul_lo_u32 v50, v50, s5
	s_abs_i32 s5, s4
	s_delay_alu instid0(VALU_DEP_3) | instskip(NEXT) | instid1(VALU_DEP_2)
	v_mul_hi_u32 v51, v52, v51
	v_sub_nc_u32_e32 v50, v64, v50
	s_delay_alu instid0(VALU_DEP_2) | instskip(NEXT) | instid1(VALU_DEP_1)
	v_mul_lo_u32 v51, v51, s7
	v_sub_nc_u32_e32 v51, v52, v51
	s_delay_alu instid0(VALU_DEP_1) | instskip(SKIP_1) | instid1(VALU_DEP_2)
	v_subrev_nc_u32_e32 v52, s7, v51
	v_cmp_le_u32_e32 vcc_lo, s7, v51
	v_cndmask_b32_e32 v51, v51, v52, vcc_lo
	s_delay_alu instid0(VALU_DEP_1)
	v_subrev_nc_u32_e32 v52, s7, v51
	v_cmp_le_u32_e32 vcc_lo, s7, v51
	s_load_b64 s[6:7], s[24:25], 0x20
	s_waitcnt vmcnt(20)
	scratch_store_b128 off, v[0:3], off offset:240
	s_waitcnt vmcnt(14)
	s_clause 0x1
	scratch_store_b128 off, v[12:15], off offset:256
	scratch_store_b128 off, v[4:7], off offset:304
	s_waitcnt vmcnt(13)
	s_clause 0x1
	scratch_store_b128 off, v[16:19], off offset:320
	scratch_store_b128 off, v[8:11], off offset:368
	s_waitcnt vmcnt(12)
	scratch_store_b128 off, v[20:23], off offset:384
	s_waitcnt vmcnt(8)
	;; [unrolled: 2-line block ×3, first 2 shown]
	s_clause 0x1
	scratch_store_b128 off, v[38:41], off offset:288
	scratch_store_b128 off, v[30:33], off offset:336
	s_waitcnt vmcnt(2)
	s_clause 0x1
	scratch_store_b128 off, v[42:45], off offset:352
	scratch_store_b128 off, v[34:37], off offset:400
	s_waitcnt vmcnt(0)
	scratch_store_b128 off, v[46:49], off offset:416
	v_dual_cndmask_b32 v51, v51, v52 :: v_dual_mov_b32 v38, 8
	s_delay_alu instid0(VALU_DEP_1) | instskip(NEXT) | instid1(VALU_DEP_1)
	v_xor_b32_e32 v51, v51, v53
	v_sub_nc_u32_e32 v52, v51, v53
	v_ashrrev_i32_e32 v51, 31, v50
	s_delay_alu instid0(VALU_DEP_2) | instskip(NEXT) | instid1(VALU_DEP_2)
	v_ashrrev_i32_e32 v53, 31, v52
	v_lshlrev_b64 v[50:51], 3, v[50:51]
	s_delay_alu instid0(VALU_DEP_2) | instskip(SKIP_1) | instid1(VALU_DEP_2)
	v_lshlrev_b64 v[52:53], 3, v[52:53]
	s_waitcnt lgkmcnt(0)
	v_add_co_u32 v50, vcc_lo, s6, v50
	s_delay_alu instid0(VALU_DEP_3) | instskip(NEXT) | instid1(VALU_DEP_3)
	v_add_co_ci_u32_e32 v51, vcc_lo, s7, v51, vcc_lo
	v_add_co_u32 v52, vcc_lo, s2, v52
	s_delay_alu instid0(VALU_DEP_4)
	v_add_co_ci_u32_e32 v53, vcc_lo, s3, v53, vcc_lo
	flat_load_b128 v[0:3], v[50:51]
	flat_load_b128 v[4:7], v[52:53]
	s_mov_b32 s2, 0x174d6123
	s_mov_b32 s3, 0x2f52f8ac
	s_waitcnt vmcnt(1) lgkmcnt(1)
	v_add_f64 v[10:11], v[2:3], -v[0:1]
	s_waitcnt vmcnt(0) lgkmcnt(0)
	v_add_f64 v[12:13], v[6:7], -v[4:5]
	v_cvt_f32_u32_e32 v6, s5
	s_delay_alu instid0(VALU_DEP_1) | instskip(SKIP_2) | instid1(VALU_DEP_1)
	v_rcp_iflag_f32_e32 v6, v6
	s_waitcnt_depctr 0xfff
	v_mul_f32_e32 v6, 0x4f7ffffe, v6
	v_cvt_u32_f32_e32 v6, v6
	v_mul_f64 v[2:3], v[10:11], v[12:13]
	s_delay_alu instid0(VALU_DEP_1)
	v_fma_f64 v[14:15], v[2:3], v[2:3], s[2:3]
	s_sub_i32 s2, 0, s5
	s_delay_alu instid0(VALU_DEP_3) | instid1(SALU_CYCLE_1)
	v_mul_lo_u32 v7, s2, v6
	s_delay_alu instid0(VALU_DEP_1) | instskip(NEXT) | instid1(VALU_DEP_1)
	v_mul_hi_u32 v7, v6, v7
	v_add_nc_u32_e32 v6, v6, v7
	s_delay_alu instid0(VALU_DEP_1) | instskip(NEXT) | instid1(VALU_DEP_1)
	v_mul_hi_u32 v6, v54, v6
	v_mul_lo_u32 v7, v6, s5
	v_add_nc_u32_e32 v8, 1, v6
	v_div_scale_f64 v[16:17], null, v[14:15], v[14:15], v[2:3]
	s_delay_alu instid0(VALU_DEP_3) | instskip(NEXT) | instid1(VALU_DEP_1)
	v_sub_nc_u32_e32 v7, v54, v7
	v_subrev_nc_u32_e32 v9, s5, v7
	v_cmp_le_u32_e32 vcc_lo, s5, v7
	s_delay_alu instid0(VALU_DEP_2) | instskip(SKIP_2) | instid1(VALU_DEP_3)
	v_dual_cndmask_b32 v6, v6, v8 :: v_dual_cndmask_b32 v7, v7, v9
	v_xor_b32_e32 v8, s4, v64
	v_add_nc_u32_e64 v64, 0xf0, 64
	v_add_nc_u32_e32 v9, 1, v6
	s_delay_alu instid0(VALU_DEP_4) | instskip(NEXT) | instid1(VALU_DEP_4)
	v_cmp_le_u32_e32 vcc_lo, s5, v7
	v_ashrrev_i32_e32 v8, 31, v8
	s_delay_alu instid0(VALU_DEP_3) | instskip(NEXT) | instid1(VALU_DEP_1)
	v_cndmask_b32_e32 v6, v6, v9, vcc_lo
	v_xor_b32_e32 v6, v6, v8
	s_delay_alu instid0(VALU_DEP_1) | instskip(SKIP_1) | instid1(VALU_DEP_1)
	v_sub_nc_u32_e32 v6, v6, v8
	v_rcp_f64_e32 v[18:19], v[16:17]
	v_ashrrev_i32_e32 v7, 31, v6
	s_delay_alu instid0(VALU_DEP_1) | instskip(NEXT) | instid1(VALU_DEP_1)
	v_lshlrev_b64 v[6:7], 3, v[6:7]
	v_add_co_u32 v6, vcc_lo, s0, v6
	s_delay_alu instid0(VALU_DEP_2) | instskip(SKIP_3) | instid1(VALU_DEP_1)
	v_add_co_ci_u32_e32 v7, vcc_lo, s1, v7, vcc_lo
	v_div_scale_f64 v[22:23], vcc_lo, v[2:3], v[14:15], v[2:3]
	flat_load_b128 v[6:9], v[6:7]
	v_fma_f64 v[20:21], -v[16:17], v[18:19], 1.0
	v_fma_f64 v[18:19], v[18:19], v[20:21], v[18:19]
	s_delay_alu instid0(VALU_DEP_1) | instskip(NEXT) | instid1(VALU_DEP_1)
	v_fma_f64 v[20:21], -v[16:17], v[18:19], 1.0
	v_fma_f64 v[18:19], v[18:19], v[20:21], v[18:19]
	s_delay_alu instid0(VALU_DEP_1) | instskip(NEXT) | instid1(VALU_DEP_1)
	v_mul_f64 v[20:21], v[22:23], v[18:19]
	v_fma_f64 v[16:17], -v[16:17], v[20:21], v[22:23]
	s_delay_alu instid0(VALU_DEP_1) | instskip(NEXT) | instid1(VALU_DEP_1)
	v_div_fmas_f64 v[16:17], v[16:17], v[18:19], v[20:21]
	v_div_fixup_f64 v[14:15], v[16:17], v[14:15], v[2:3]
	s_waitcnt vmcnt(0) lgkmcnt(0)
	v_add_f64 v[16:17], v[8:9], -v[6:7]
	v_cmp_gt_f64_e32 vcc_lo, v[8:9], v[6:7]
	v_mov_b32_e32 v8, 0
	s_clause 0x1
	scratch_store_b32 off, v8, off offset:8
	scratch_store_b32 off, v8, off offset:4
	v_mul_f64 v[32:33], v[12:13], v[14:15]
	v_mul_f64 v[30:31], v[10:11], v[14:15]
	scratch_store_b32 off, v8, off
	v_dual_cndmask_b32 v35, 0, v17 :: v_dual_cndmask_b32 v34, 0, v16
	s_branch .LBB2_6
.LBB2_3:                                ;   in Loop: Header=BB2_6 Depth=1
	s_or_b32 exec_lo, exec_lo, s6
.LBB2_4:                                ;   in Loop: Header=BB2_6 Depth=1
	s_delay_alu instid0(SALU_CYCLE_1)
	s_or_b32 exec_lo, exec_lo, s5
	scratch_load_b32 v9, v8, off
	s_waitcnt vmcnt(0)
	v_lshl_or_b32 v9, 8, s11, v9
	scratch_store_b32 v8, v9, off
.LBB2_5:                                ;   in Loop: Header=BB2_6 Depth=1
	s_or_b32 exec_lo, exec_lo, s16
	s_add_i32 s11, s11, 4
	s_add_u32 s14, s14, 1
	s_addc_u32 s15, s15, 0
	s_delay_alu instid0(SALU_CYCLE_1)
	s_cmp_lg_u64 s[14:15], 6
	s_cbranch_scc0 .LBB2_128
.LBB2_6:                                ; =>This Inner Loop Header: Depth=1
	s_cmp_lt_i32 s14, 2
	s_cbranch_scc1 .LBB2_11
; %bb.7:                                ;   in Loop: Header=BB2_6 Depth=1
	s_cmp_gt_i32 s14, 2
	s_cbranch_scc0 .LBB2_12
; %bb.8:                                ;   in Loop: Header=BB2_6 Depth=1
	s_cmp_gt_i32 s14, 3
	s_cbranch_scc0 .LBB2_13
; %bb.9:                                ;   in Loop: Header=BB2_6 Depth=1
	s_cmp_eq_u32 s14, 4
	s_cbranch_scc0 .LBB2_14
; %bb.10:                               ;   in Loop: Header=BB2_6 Depth=1
	v_mov_b32_e32 v8, 0xf0
	s_mov_b32 s0, 0
	s_mov_b32 s5, 0
	;; [unrolled: 1-line block ×5, first 2 shown]
	s_branch .LBB2_15
.LBB2_11:                               ;   in Loop: Header=BB2_6 Depth=1
	s_mov_b32 s0, 0
                                        ; implicit-def: $sgpr2
                                        ; implicit-def: $vgpr9
                                        ; implicit-def: $sgpr3
                                        ; implicit-def: $vgpr14
                                        ; implicit-def: $sgpr4
                                        ; implicit-def: $vgpr15
                                        ; implicit-def: $sgpr5
                                        ; implicit-def: $vgpr8
	s_cbranch_execnz .LBB2_20
	s_branch .LBB2_25
.LBB2_12:                               ;   in Loop: Header=BB2_6 Depth=1
	s_mov_b32 s0, 0
                                        ; implicit-def: $sgpr2
                                        ; implicit-def: $vgpr9
                                        ; implicit-def: $sgpr3
                                        ; implicit-def: $vgpr14
                                        ; implicit-def: $sgpr4
                                        ; implicit-def: $vgpr15
                                        ; implicit-def: $sgpr5
                                        ; implicit-def: $vgpr8
	s_cbranch_execnz .LBB2_18
	s_branch .LBB2_19
.LBB2_13:                               ;   in Loop: Header=BB2_6 Depth=1
	s_mov_b32 s0, 0
                                        ; implicit-def: $sgpr2
                                        ; implicit-def: $vgpr9
                                        ; implicit-def: $sgpr3
                                        ; implicit-def: $vgpr14
                                        ; implicit-def: $sgpr4
                                        ; implicit-def: $vgpr15
                                        ; implicit-def: $sgpr5
                                        ; implicit-def: $vgpr8
	s_cbranch_execnz .LBB2_16
	s_branch .LBB2_17
.LBB2_14:                               ;   in Loop: Header=BB2_6 Depth=1
	s_mov_b32 s0, -1
                                        ; implicit-def: $sgpr2
                                        ; implicit-def: $sgpr3
                                        ; implicit-def: $sgpr4
                                        ; implicit-def: $sgpr5
                                        ; implicit-def: $vgpr8
.LBB2_15:                               ;   in Loop: Header=BB2_6 Depth=1
	v_dual_mov_b32 v9, v58 :: v_dual_mov_b32 v14, v61
	v_mov_b32_e32 v15, v60
	s_branch .LBB2_17
.LBB2_16:                               ;   in Loop: Header=BB2_6 Depth=1
	s_mov_b32 s5, 2
	v_dual_mov_b32 v9, v59 :: v_dual_mov_b32 v8, v58
	v_dual_mov_b32 v14, v63 :: v_dual_mov_b32 v15, v61
	s_mov_b32 s4, 3
	s_mov_b32 s3, 7
	s_mov_b32 s2, 6
.LBB2_17:                               ;   in Loop: Header=BB2_6 Depth=1
	s_branch .LBB2_19
.LBB2_18:                               ;   in Loop: Header=BB2_6 Depth=1
	v_dual_mov_b32 v8, 0xf0 :: v_dual_mov_b32 v9, v60
	v_dual_mov_b32 v14, v57 :: v_dual_mov_b32 v15, v62
	s_mov_b32 s5, 0
	s_mov_b32 s4, 4
	s_mov_b32 s3, 5
	s_mov_b32 s2, 1
.LBB2_19:                               ;   in Loop: Header=BB2_6 Depth=1
	s_branch .LBB2_25
.LBB2_20:                               ;   in Loop: Header=BB2_6 Depth=1
	s_cmp_gt_i32 s14, 0
	s_cbranch_scc0 .LBB2_22
; %bb.21:                               ;   in Loop: Header=BB2_6 Depth=1
	s_mov_b32 s1, 0
	s_mov_b32 s5, 1
	;; [unrolled: 1-line block ×5, first 2 shown]
	s_branch .LBB2_23
.LBB2_22:                               ;   in Loop: Header=BB2_6 Depth=1
	s_mov_b32 s1, -1
                                        ; implicit-def: $sgpr2
                                        ; implicit-def: $sgpr3
                                        ; implicit-def: $sgpr4
                                        ; implicit-def: $sgpr5
.LBB2_23:                               ;   in Loop: Header=BB2_6 Depth=1
	v_dual_mov_b32 v9, v61 :: v_dual_mov_b32 v14, v63
	v_dual_mov_b32 v15, v57 :: v_dual_mov_b32 v8, v60
	s_and_not1_b32 vcc_lo, exec_lo, s1
	s_cbranch_vccnz .LBB2_25
; %bb.24:                               ;   in Loop: Header=BB2_6 Depth=1
	v_dual_mov_b32 v8, 0xf0 :: v_dual_mov_b32 v9, v62
	v_dual_mov_b32 v14, v59 :: v_dual_mov_b32 v15, v58
	s_cmp_lg_u32 s14, 0
	s_mov_b32 s4, 2
	s_mov_b32 s3, 6
	s_mov_b32 s2, 4
	s_cselect_b32 s0, -1, 0
	s_mov_b32 s5, s14
.LBB2_25:                               ;   in Loop: Header=BB2_6 Depth=1
	s_and_b32 vcc_lo, exec_lo, s0
	s_cbranch_vccz .LBB2_27
; %bb.26:                               ;   in Loop: Header=BB2_6 Depth=1
	v_dual_mov_b32 v8, v62 :: v_dual_mov_b32 v15, v59
	v_dual_mov_b32 v14, v63 :: v_dual_mov_b32 v9, v57
	s_mov_b32 s2, 5
	s_mov_b32 s3, 7
	s_mov_b32 s4, 6
	s_mov_b32 s5, 4
.LBB2_27:                               ;   in Loop: Header=BB2_6 Depth=1
	scratch_load_b64 v[16:17], v8, off
	scratch_load_b64 v[18:19], v15, off
	;; [unrolled: 1-line block ×4, first 2 shown]
	s_waitcnt vmcnt(2)
	v_add_f64 v[20:21], v[16:17], v[18:19]
	v_add_f64 v[18:19], v[18:19], -v[0:1]
	s_waitcnt vmcnt(1)
	s_delay_alu instid0(VALU_DEP_2) | instskip(SKIP_1) | instid1(VALU_DEP_1)
	v_add_f64 v[14:15], v[20:21], v[14:15]
	s_waitcnt vmcnt(0)
	v_add_f64 v[8:9], v[14:15], v[8:9]
	v_add_f64 v[14:15], v[16:17], -v[0:1]
	s_delay_alu instid0(VALU_DEP_2) | instskip(NEXT) | instid1(VALU_DEP_2)
	v_fma_f64 v[8:9], 0x3fd00000, v[8:9], -v[0:1]
	v_mul_f64 v[16:17], v[32:33], v[14:15]
	s_delay_alu instid0(VALU_DEP_2) | instskip(SKIP_1) | instid1(VALU_DEP_3)
	v_mul_f64 v[14:15], v[32:33], v[8:9]
	v_mul_f64 v[8:9], v[32:33], v[18:19]
	v_cmp_ngt_f64_e32 vcc_lo, 0, v[16:17]
	s_delay_alu instid0(VALU_DEP_3) | instskip(NEXT) | instid1(VALU_DEP_3)
	v_cmp_ngt_f64_e64 s0, 0, v[14:15]
	v_cmp_ngt_f64_e64 s1, 0, v[8:9]
	s_delay_alu instid0(VALU_DEP_2)
	s_or_b32 s0, vcc_lo, s0
	s_delay_alu instid0(VALU_DEP_1) | instid1(SALU_CYCLE_1)
	s_or_b32 s0, s0, s1
	s_delay_alu instid0(SALU_CYCLE_1)
	s_and_saveexec_b32 s16, s0
	s_cbranch_execz .LBB2_37
; %bb.28:                               ;   in Loop: Header=BB2_6 Depth=1
	v_cmp_nle_f64_e32 vcc_lo, 1.0, v[16:17]
	v_cmp_nle_f64_e64 s0, 1.0, v[14:15]
	v_cmp_nle_f64_e64 s1, 1.0, v[8:9]
	s_delay_alu instid0(VALU_DEP_2)
	s_or_b32 s0, vcc_lo, s0
	s_delay_alu instid0(VALU_DEP_1) | instid1(SALU_CYCLE_1)
	s_or_b32 s0, s0, s1
	s_delay_alu instid0(SALU_CYCLE_1)
	s_and_b32 exec_lo, exec_lo, s0
	s_cbranch_execz .LBB2_37
; %bb.29:                               ;   in Loop: Header=BB2_6 Depth=1
	s_lshl_b32 s0, s5, 3
	s_lshl_b32 s4, s4, 3
	v_add_nc_u32_e64 v18, 0xf0, s0
	s_add_i32 s0, s4, 0xf0
	s_lshl_b32 s3, s3, 3
	s_lshl_b32 s2, s2, 3
	s_delay_alu instid0(VALU_DEP_1)
	v_add_nc_u32_e32 v19, 64, v18
	s_clause 0x1
	scratch_load_b64 v[19:20], v19, off
	scratch_load_b64 v[21:22], off, s0 offset:64
	s_add_i32 s0, s3, 0xf0
	scratch_load_b64 v[23:24], off, s0 offset:64
	s_add_i32 s0, s2, 0xf0
	scratch_load_b64 v[25:26], off, s0 offset:64
	s_waitcnt vmcnt(2)
	v_add_f64 v[36:37], v[19:20], v[21:22]
	v_add_f64 v[19:20], v[19:20], -v[4:5]
	v_add_f64 v[21:22], v[21:22], -v[4:5]
	s_waitcnt vmcnt(1)
	s_delay_alu instid0(VALU_DEP_3) | instskip(NEXT) | instid1(VALU_DEP_3)
	v_add_f64 v[23:24], v[36:37], v[23:24]
	v_mul_f64 v[36:37], v[30:31], v[19:20]
	s_waitcnt vmcnt(0)
	s_delay_alu instid0(VALU_DEP_2) | instskip(NEXT) | instid1(VALU_DEP_2)
	v_add_f64 v[23:24], v[23:24], v[25:26]
	v_cmp_ngt_f64_e32 vcc_lo, 0, v[36:37]
	s_delay_alu instid0(VALU_DEP_2) | instskip(NEXT) | instid1(VALU_DEP_1)
	v_fma_f64 v[23:24], 0x3fd00000, v[23:24], -v[4:5]
	v_mul_f64 v[26:27], v[30:31], v[23:24]
	v_mul_f64 v[24:25], v[30:31], v[21:22]
	s_delay_alu instid0(VALU_DEP_2) | instskip(NEXT) | instid1(VALU_DEP_2)
	v_cmp_ngt_f64_e64 s0, 0, v[26:27]
	v_cmp_ngt_f64_e64 s1, 0, v[24:25]
	s_delay_alu instid0(VALU_DEP_2)
	s_or_b32 s0, vcc_lo, s0
	s_delay_alu instid0(VALU_DEP_1) | instid1(SALU_CYCLE_1)
	s_or_b32 s0, s0, s1
	s_delay_alu instid0(SALU_CYCLE_1)
	s_and_b32 exec_lo, exec_lo, s0
	s_cbranch_execz .LBB2_37
; %bb.30:                               ;   in Loop: Header=BB2_6 Depth=1
	v_cmp_nle_f64_e32 vcc_lo, 1.0, v[36:37]
	v_cmp_nle_f64_e64 s0, 1.0, v[26:27]
	v_cmp_nle_f64_e64 s1, 1.0, v[24:25]
	s_delay_alu instid0(VALU_DEP_2)
	s_or_b32 s0, vcc_lo, s0
	s_delay_alu instid0(VALU_DEP_1) | instid1(SALU_CYCLE_1)
	s_or_b32 s0, s0, s1
	s_delay_alu instid0(SALU_CYCLE_1)
	s_and_b32 exec_lo, exec_lo, s0
	s_cbranch_execz .LBB2_37
; %bb.31:                               ;   in Loop: Header=BB2_6 Depth=1
	v_add_nc_u32_e32 v18, 0x80, v18
	v_add_nc_u32_e64 v20, 0xf0, s4
	v_add_nc_u32_e64 v22, 0xf0, s2
	s_clause 0x1
	scratch_load_b64 v[18:19], v18, off
	scratch_load_b64 v[39:40], v20, off offset:128
	v_add_nc_u32_e64 v20, 0xf0, s3
	s_clause 0x1
	scratch_load_b64 v[22:23], v22, off offset:128
	scratch_load_b64 v[20:21], v20, off offset:128
	s_waitcnt vmcnt(2)
	v_add_f64 v[41:42], v[18:19], v[39:40]
	s_waitcnt vmcnt(0)
	s_delay_alu instid0(VALU_DEP_1) | instskip(NEXT) | instid1(VALU_DEP_1)
	v_add_f64 v[20:21], v[41:42], v[20:21]
	v_add_f64 v[20:21], v[20:21], v[22:23]
	v_add_f64 v[22:23], v[18:19], -v[6:7]
	v_add_f64 v[18:19], v[39:40], -v[6:7]
	s_delay_alu instid0(VALU_DEP_3) | instskip(NEXT) | instid1(VALU_DEP_3)
	v_fma_f64 v[20:21], 0x3fd00000, v[20:21], -v[6:7]
	v_cmp_ngt_f64_e32 vcc_lo, 0, v[22:23]
	s_delay_alu instid0(VALU_DEP_3) | instskip(NEXT) | instid1(VALU_DEP_3)
	v_cmp_ngt_f64_e64 s1, 0, v[18:19]
	v_cmp_ngt_f64_e64 s0, 0, v[20:21]
	s_delay_alu instid0(VALU_DEP_1)
	s_or_b32 s0, vcc_lo, s0
	s_delay_alu instid0(VALU_DEP_2) | instid1(SALU_CYCLE_1)
	s_or_b32 s0, s0, s1
	s_delay_alu instid0(SALU_CYCLE_1)
	s_and_b32 exec_lo, exec_lo, s0
	s_cbranch_execz .LBB2_37
; %bb.32:                               ;   in Loop: Header=BB2_6 Depth=1
	v_cmp_le_f64_e32 vcc_lo, 0, v[16:17]
	v_cmp_le_f64_e64 s0, 0, v[14:15]
	v_cmp_le_f64_e64 s1, 0, v[8:9]
	v_cmp_gt_f64_e64 s2, 1.0, v[16:17]
	v_cmp_gt_f64_e64 s3, 1.0, v[14:15]
	;; [unrolled: 1-line block ×3, first 2 shown]
	v_cmp_le_f64_e64 s5, 0, v[36:37]
	v_cmp_le_f64_e64 s6, 0, v[26:27]
	;; [unrolled: 1-line block ×3, first 2 shown]
	v_cmp_gt_f64_e64 s8, 1.0, v[36:37]
	v_cmp_gt_f64_e64 s9, 1.0, v[26:27]
	;; [unrolled: 1-line block ×3, first 2 shown]
	v_mov_b32_e32 v8, 8
	s_and_b32 s0, vcc_lo, s0
	s_delay_alu instid0(SALU_CYCLE_1) | instskip(NEXT) | instid1(SALU_CYCLE_1)
	s_and_b32 s0, s0, s1
	s_and_b32 s0, s2, s0
	s_delay_alu instid0(SALU_CYCLE_1) | instskip(NEXT) | instid1(SALU_CYCLE_1)
	s_and_b32 s0, s0, s3
	s_and_b32 s0, s0, s4
	;; [unrolled: 3-line block ×3, first 2 shown]
	s_delay_alu instid0(SALU_CYCLE_1)
	s_and_b32 s0, s0, s7
	s_delay_alu instid0(VALU_DEP_4) | instid1(SALU_CYCLE_1)
	s_and_b32 s0, s8, s0
	s_delay_alu instid0(VALU_DEP_3) | instid1(SALU_CYCLE_1)
	s_and_b32 s0, s0, s9
	s_delay_alu instid0(VALU_DEP_2) | instid1(SALU_CYCLE_1)
	s_and_b32 s0, s0, s10
	s_delay_alu instid0(SALU_CYCLE_1)
	s_and_saveexec_b32 s5, s0
	s_cbranch_execz .LBB2_36
; %bb.33:                               ;   in Loop: Header=BB2_6 Depth=1
	v_cmp_nge_f64_e32 vcc_lo, v[22:23], v[34:35]
	v_cmp_nge_f64_e64 s0, v[20:21], v[34:35]
	v_cmp_nge_f64_e64 s1, v[18:19], v[34:35]
	v_mov_b32_e32 v8, 4
	s_delay_alu instid0(VALU_DEP_3)
	s_or_b32 s0, vcc_lo, s0
	s_delay_alu instid0(VALU_DEP_2) | instid1(SALU_CYCLE_1)
	s_or_b32 s0, s0, s1
	s_delay_alu instid0(SALU_CYCLE_1)
	s_and_saveexec_b32 s6, s0
	s_cbranch_execz .LBB2_35
; %bb.34:                               ;   in Loop: Header=BB2_6 Depth=1
	v_cmp_le_f64_e32 vcc_lo, 0, v[22:23]
	v_cmp_le_f64_e64 s0, 0, v[20:21]
	v_cmp_le_f64_e64 s1, 0, v[18:19]
	v_cmp_lt_f64_e64 s2, v[22:23], v[34:35]
	v_cmp_lt_f64_e64 s3, v[20:21], v[34:35]
	v_cmp_lt_f64_e64 s4, v[18:19], v[34:35]
	s_and_b32 s0, vcc_lo, s0
	s_delay_alu instid0(VALU_DEP_4) | instid1(SALU_CYCLE_1)
	s_and_b32 s0, s0, s1
	s_delay_alu instid0(VALU_DEP_3) | instid1(SALU_CYCLE_1)
	s_and_b32 s0, s2, s0
	s_delay_alu instid0(VALU_DEP_2) | instid1(SALU_CYCLE_1)
	s_and_b32 s0, s0, s3
	s_delay_alu instid0(VALU_DEP_1) | instid1(SALU_CYCLE_1)
	s_and_b32 s0, s0, s4
	s_delay_alu instid0(SALU_CYCLE_1)
	v_cndmask_b32_e64 v8, v38, 0, s0
.LBB2_35:                               ;   in Loop: Header=BB2_6 Depth=1
	s_or_b32 exec_lo, exec_lo, s6
.LBB2_36:                               ;   in Loop: Header=BB2_6 Depth=1
	s_delay_alu instid0(SALU_CYCLE_1)
	s_or_b32 exec_lo, exec_lo, s5
	scratch_load_b32 v9, v8, off
	s_waitcnt vmcnt(0)
	v_lshl_or_b32 v9, 1, s11, v9
	scratch_store_b32 v8, v9, off
.LBB2_37:                               ;   in Loop: Header=BB2_6 Depth=1
	s_or_b32 exec_lo, exec_lo, s16
	s_cmp_lt_i32 s14, 2
	s_cbranch_scc1 .LBB2_42
; %bb.38:                               ;   in Loop: Header=BB2_6 Depth=1
	s_cmp_gt_i32 s14, 2
	s_cbranch_scc0 .LBB2_43
; %bb.39:                               ;   in Loop: Header=BB2_6 Depth=1
	s_cmp_gt_i32 s14, 3
	s_cbranch_scc0 .LBB2_44
; %bb.40:                               ;   in Loop: Header=BB2_6 Depth=1
	s_cmp_eq_u32 s14, 4
	s_cbranch_scc0 .LBB2_45
; %bb.41:                               ;   in Loop: Header=BB2_6 Depth=1
	v_mov_b32_e32 v8, 0xf0
	s_mov_b32 s0, 0
	s_mov_b32 s5, 0
	;; [unrolled: 1-line block ×5, first 2 shown]
	s_branch .LBB2_46
.LBB2_42:                               ;   in Loop: Header=BB2_6 Depth=1
	s_mov_b32 s0, 0
                                        ; implicit-def: $sgpr2
                                        ; implicit-def: $vgpr9
                                        ; implicit-def: $sgpr3
                                        ; implicit-def: $vgpr14
                                        ; implicit-def: $sgpr4
                                        ; implicit-def: $vgpr15
                                        ; implicit-def: $sgpr5
                                        ; implicit-def: $vgpr8
	s_cbranch_execnz .LBB2_51
	s_branch .LBB2_56
.LBB2_43:                               ;   in Loop: Header=BB2_6 Depth=1
	s_mov_b32 s0, 0
                                        ; implicit-def: $sgpr2
                                        ; implicit-def: $vgpr9
                                        ; implicit-def: $sgpr3
                                        ; implicit-def: $vgpr14
                                        ; implicit-def: $sgpr4
                                        ; implicit-def: $vgpr15
                                        ; implicit-def: $sgpr5
                                        ; implicit-def: $vgpr8
	s_cbranch_execnz .LBB2_49
	s_branch .LBB2_50
.LBB2_44:                               ;   in Loop: Header=BB2_6 Depth=1
	s_mov_b32 s0, 0
                                        ; implicit-def: $sgpr2
                                        ; implicit-def: $vgpr9
                                        ; implicit-def: $sgpr3
                                        ; implicit-def: $vgpr14
                                        ; implicit-def: $sgpr4
                                        ; implicit-def: $vgpr15
                                        ; implicit-def: $sgpr5
                                        ; implicit-def: $vgpr8
	s_cbranch_execnz .LBB2_47
	s_branch .LBB2_48
.LBB2_45:                               ;   in Loop: Header=BB2_6 Depth=1
	s_mov_b32 s0, -1
                                        ; implicit-def: $sgpr2
                                        ; implicit-def: $sgpr3
                                        ; implicit-def: $sgpr4
                                        ; implicit-def: $sgpr5
                                        ; implicit-def: $vgpr8
.LBB2_46:                               ;   in Loop: Header=BB2_6 Depth=1
	v_dual_mov_b32 v9, v58 :: v_dual_mov_b32 v14, v61
	v_mov_b32_e32 v15, v60
	s_branch .LBB2_48
.LBB2_47:                               ;   in Loop: Header=BB2_6 Depth=1
	v_dual_mov_b32 v9, v59 :: v_dual_mov_b32 v8, v58
	v_dual_mov_b32 v14, v63 :: v_dual_mov_b32 v15, v61
	s_mov_b32 s5, 2
	s_mov_b32 s4, 3
	;; [unrolled: 1-line block ×4, first 2 shown]
.LBB2_48:                               ;   in Loop: Header=BB2_6 Depth=1
	s_branch .LBB2_50
.LBB2_49:                               ;   in Loop: Header=BB2_6 Depth=1
	v_dual_mov_b32 v8, 0xf0 :: v_dual_mov_b32 v9, v60
	v_dual_mov_b32 v14, v57 :: v_dual_mov_b32 v15, v62
	s_mov_b32 s5, 0
	s_mov_b32 s4, 4
	;; [unrolled: 1-line block ×4, first 2 shown]
.LBB2_50:                               ;   in Loop: Header=BB2_6 Depth=1
	s_branch .LBB2_56
.LBB2_51:                               ;   in Loop: Header=BB2_6 Depth=1
	s_cmp_gt_i32 s14, 0
	s_cbranch_scc0 .LBB2_53
; %bb.52:                               ;   in Loop: Header=BB2_6 Depth=1
	s_mov_b32 s1, 0
	s_mov_b32 s5, 1
	;; [unrolled: 1-line block ×5, first 2 shown]
	s_branch .LBB2_54
.LBB2_53:                               ;   in Loop: Header=BB2_6 Depth=1
	s_mov_b32 s1, -1
                                        ; implicit-def: $sgpr2
                                        ; implicit-def: $sgpr3
                                        ; implicit-def: $sgpr4
                                        ; implicit-def: $sgpr5
.LBB2_54:                               ;   in Loop: Header=BB2_6 Depth=1
	v_dual_mov_b32 v9, v61 :: v_dual_mov_b32 v14, v63
	v_dual_mov_b32 v15, v57 :: v_dual_mov_b32 v8, v60
	s_and_not1_b32 vcc_lo, exec_lo, s1
	s_cbranch_vccnz .LBB2_56
; %bb.55:                               ;   in Loop: Header=BB2_6 Depth=1
	v_dual_mov_b32 v8, 0xf0 :: v_dual_mov_b32 v9, v62
	v_dual_mov_b32 v14, v59 :: v_dual_mov_b32 v15, v58
	s_cmp_lg_u32 s14, 0
	s_mov_b32 s4, 2
	s_mov_b32 s3, 6
	;; [unrolled: 1-line block ×3, first 2 shown]
	s_cselect_b32 s0, -1, 0
	s_mov_b32 s5, s14
.LBB2_56:                               ;   in Loop: Header=BB2_6 Depth=1
	s_and_b32 vcc_lo, exec_lo, s0
	s_cbranch_vccz .LBB2_58
; %bb.57:                               ;   in Loop: Header=BB2_6 Depth=1
	v_dual_mov_b32 v8, v62 :: v_dual_mov_b32 v15, v59
	v_dual_mov_b32 v14, v63 :: v_dual_mov_b32 v9, v57
	s_mov_b32 s2, 5
	s_mov_b32 s3, 7
	;; [unrolled: 1-line block ×4, first 2 shown]
.LBB2_58:                               ;   in Loop: Header=BB2_6 Depth=1
	scratch_load_b64 v[16:17], v8, off
	scratch_load_b64 v[18:19], v15, off
	;; [unrolled: 1-line block ×4, first 2 shown]
	s_waitcnt vmcnt(2)
	v_add_f64 v[16:17], v[16:17], v[18:19]
	s_waitcnt vmcnt(1)
	s_delay_alu instid0(VALU_DEP_1) | instskip(SKIP_1) | instid1(VALU_DEP_1)
	v_add_f64 v[16:17], v[16:17], v[14:15]
	s_waitcnt vmcnt(0)
	v_add_f64 v[8:9], v[16:17], v[8:9]
	v_add_f64 v[16:17], v[18:19], -v[0:1]
	v_add_f64 v[18:19], v[14:15], -v[0:1]
	s_delay_alu instid0(VALU_DEP_3) | instskip(NEXT) | instid1(VALU_DEP_3)
	v_fma_f64 v[8:9], 0x3fd00000, v[8:9], -v[0:1]
	v_mul_f64 v[16:17], v[32:33], v[16:17]
	s_delay_alu instid0(VALU_DEP_2) | instskip(NEXT) | instid1(VALU_DEP_4)
	v_mul_f64 v[14:15], v[32:33], v[8:9]
	v_mul_f64 v[8:9], v[32:33], v[18:19]
	s_delay_alu instid0(VALU_DEP_3) | instskip(NEXT) | instid1(VALU_DEP_3)
	v_cmp_ngt_f64_e32 vcc_lo, 0, v[16:17]
	v_cmp_ngt_f64_e64 s0, 0, v[14:15]
	s_delay_alu instid0(VALU_DEP_3) | instskip(NEXT) | instid1(VALU_DEP_2)
	v_cmp_ngt_f64_e64 s1, 0, v[8:9]
	s_or_b32 s0, vcc_lo, s0
	s_delay_alu instid0(VALU_DEP_1) | instid1(SALU_CYCLE_1)
	s_or_b32 s0, s0, s1
	s_delay_alu instid0(SALU_CYCLE_1)
	s_and_saveexec_b32 s16, s0
	s_cbranch_execz .LBB2_68
; %bb.59:                               ;   in Loop: Header=BB2_6 Depth=1
	v_cmp_nle_f64_e32 vcc_lo, 1.0, v[16:17]
	v_cmp_nle_f64_e64 s0, 1.0, v[14:15]
	v_cmp_nle_f64_e64 s1, 1.0, v[8:9]
	s_delay_alu instid0(VALU_DEP_2)
	s_or_b32 s0, vcc_lo, s0
	s_delay_alu instid0(VALU_DEP_1) | instid1(SALU_CYCLE_1)
	s_or_b32 s0, s0, s1
	s_delay_alu instid0(SALU_CYCLE_1)
	s_and_b32 exec_lo, exec_lo, s0
	s_cbranch_execz .LBB2_68
; %bb.60:                               ;   in Loop: Header=BB2_6 Depth=1
	s_lshl_b32 s0, s5, 3
	s_lshl_b32 s4, s4, 3
	v_add_nc_u32_e64 v18, 0xf0, s0
	s_add_i32 s0, s4, 0xf0
	s_lshl_b32 s3, s3, 3
	s_lshl_b32 s2, s2, 3
	s_delay_alu instid0(VALU_DEP_1)
	v_add_nc_u32_e32 v19, 64, v18
	s_clause 0x1
	scratch_load_b64 v[19:20], v19, off
	scratch_load_b64 v[21:22], off, s0 offset:64
	s_add_i32 s0, s3, 0xf0
	scratch_load_b64 v[23:24], off, s0 offset:64
	s_add_i32 s0, s2, 0xf0
	scratch_load_b64 v[25:26], off, s0 offset:64
	s_waitcnt vmcnt(2)
	v_add_f64 v[19:20], v[19:20], v[21:22]
	v_add_f64 v[21:22], v[21:22], -v[4:5]
	s_waitcnt vmcnt(1)
	s_delay_alu instid0(VALU_DEP_2) | instskip(SKIP_1) | instid1(VALU_DEP_3)
	v_add_f64 v[19:20], v[19:20], v[23:24]
	v_add_f64 v[23:24], v[23:24], -v[4:5]
	v_mul_f64 v[36:37], v[30:31], v[21:22]
	s_waitcnt vmcnt(0)
	s_delay_alu instid0(VALU_DEP_3) | instskip(NEXT) | instid1(VALU_DEP_3)
	v_add_f64 v[19:20], v[19:20], v[25:26]
	v_mul_f64 v[24:25], v[30:31], v[23:24]
	s_delay_alu instid0(VALU_DEP_3) | instskip(NEXT) | instid1(VALU_DEP_3)
	v_cmp_ngt_f64_e32 vcc_lo, 0, v[36:37]
	v_fma_f64 v[19:20], 0x3fd00000, v[19:20], -v[4:5]
	s_delay_alu instid0(VALU_DEP_3) | instskip(NEXT) | instid1(VALU_DEP_2)
	v_cmp_ngt_f64_e64 s1, 0, v[24:25]
	v_mul_f64 v[26:27], v[30:31], v[19:20]
	s_delay_alu instid0(VALU_DEP_1) | instskip(NEXT) | instid1(VALU_DEP_1)
	v_cmp_ngt_f64_e64 s0, 0, v[26:27]
	s_or_b32 s0, vcc_lo, s0
	s_delay_alu instid0(VALU_DEP_3) | instid1(SALU_CYCLE_1)
	s_or_b32 s0, s0, s1
	s_delay_alu instid0(SALU_CYCLE_1)
	s_and_b32 exec_lo, exec_lo, s0
	s_cbranch_execz .LBB2_68
; %bb.61:                               ;   in Loop: Header=BB2_6 Depth=1
	v_cmp_nle_f64_e32 vcc_lo, 1.0, v[36:37]
	v_cmp_nle_f64_e64 s0, 1.0, v[26:27]
	v_cmp_nle_f64_e64 s1, 1.0, v[24:25]
	s_delay_alu instid0(VALU_DEP_2)
	s_or_b32 s0, vcc_lo, s0
	s_delay_alu instid0(VALU_DEP_1) | instid1(SALU_CYCLE_1)
	s_or_b32 s0, s0, s1
	s_delay_alu instid0(SALU_CYCLE_1)
	s_and_b32 exec_lo, exec_lo, s0
	s_cbranch_execz .LBB2_68
; %bb.62:                               ;   in Loop: Header=BB2_6 Depth=1
	v_add_nc_u32_e32 v18, 0x80, v18
	v_add_nc_u32_e64 v20, 0xf0, s4
	v_add_nc_u32_e64 v22, 0xf0, s3
	s_clause 0x2
	scratch_load_b64 v[18:19], v18, off
	scratch_load_b64 v[20:21], v20, off offset:128
	scratch_load_b64 v[39:40], v22, off offset:128
	v_add_nc_u32_e64 v22, 0xf0, s2
	scratch_load_b64 v[22:23], v22, off offset:128
	s_waitcnt vmcnt(2)
	v_add_f64 v[18:19], v[18:19], v[20:21]
	s_waitcnt vmcnt(1)
	s_delay_alu instid0(VALU_DEP_1) | instskip(SKIP_1) | instid1(VALU_DEP_1)
	v_add_f64 v[18:19], v[18:19], v[39:40]
	s_waitcnt vmcnt(0)
	v_add_f64 v[18:19], v[18:19], v[22:23]
	v_add_f64 v[22:23], v[20:21], -v[6:7]
	s_delay_alu instid0(VALU_DEP_2) | instskip(SKIP_1) | instid1(VALU_DEP_3)
	v_fma_f64 v[20:21], 0x3fd00000, v[18:19], -v[6:7]
	v_add_f64 v[18:19], v[39:40], -v[6:7]
	v_cmp_ngt_f64_e32 vcc_lo, 0, v[22:23]
	s_delay_alu instid0(VALU_DEP_3) | instskip(NEXT) | instid1(VALU_DEP_3)
	v_cmp_ngt_f64_e64 s0, 0, v[20:21]
	v_cmp_ngt_f64_e64 s1, 0, v[18:19]
	s_delay_alu instid0(VALU_DEP_2)
	s_or_b32 s0, vcc_lo, s0
	s_delay_alu instid0(VALU_DEP_1) | instid1(SALU_CYCLE_1)
	s_or_b32 s0, s0, s1
	s_delay_alu instid0(SALU_CYCLE_1)
	s_and_b32 exec_lo, exec_lo, s0
	s_cbranch_execz .LBB2_68
; %bb.63:                               ;   in Loop: Header=BB2_6 Depth=1
	v_cmp_le_f64_e32 vcc_lo, 0, v[16:17]
	v_cmp_le_f64_e64 s0, 0, v[14:15]
	v_cmp_le_f64_e64 s1, 0, v[8:9]
	v_cmp_gt_f64_e64 s2, 1.0, v[16:17]
	v_cmp_gt_f64_e64 s3, 1.0, v[14:15]
	;; [unrolled: 1-line block ×3, first 2 shown]
	v_cmp_le_f64_e64 s5, 0, v[36:37]
	v_cmp_le_f64_e64 s6, 0, v[26:27]
	;; [unrolled: 1-line block ×3, first 2 shown]
	v_cmp_gt_f64_e64 s8, 1.0, v[36:37]
	v_cmp_gt_f64_e64 s9, 1.0, v[26:27]
	;; [unrolled: 1-line block ×3, first 2 shown]
	v_mov_b32_e32 v8, 8
	s_and_b32 s0, vcc_lo, s0
	s_delay_alu instid0(SALU_CYCLE_1) | instskip(NEXT) | instid1(SALU_CYCLE_1)
	s_and_b32 s0, s0, s1
	s_and_b32 s0, s2, s0
	s_delay_alu instid0(SALU_CYCLE_1) | instskip(NEXT) | instid1(SALU_CYCLE_1)
	s_and_b32 s0, s0, s3
	s_and_b32 s0, s0, s4
	s_delay_alu instid0(SALU_CYCLE_1) | instskip(NEXT) | instid1(SALU_CYCLE_1)
	s_and_b32 s0, s5, s0
	s_and_b32 s0, s0, s6
	s_delay_alu instid0(SALU_CYCLE_1)
	s_and_b32 s0, s0, s7
	s_delay_alu instid0(VALU_DEP_4) | instid1(SALU_CYCLE_1)
	s_and_b32 s0, s8, s0
	s_delay_alu instid0(VALU_DEP_3) | instid1(SALU_CYCLE_1)
	s_and_b32 s0, s0, s9
	s_delay_alu instid0(VALU_DEP_2) | instid1(SALU_CYCLE_1)
	s_and_b32 s0, s0, s10
	s_delay_alu instid0(SALU_CYCLE_1)
	s_and_saveexec_b32 s5, s0
	s_cbranch_execz .LBB2_67
; %bb.64:                               ;   in Loop: Header=BB2_6 Depth=1
	v_cmp_nge_f64_e32 vcc_lo, v[22:23], v[34:35]
	v_cmp_nge_f64_e64 s0, v[20:21], v[34:35]
	v_cmp_nge_f64_e64 s1, v[18:19], v[34:35]
	v_mov_b32_e32 v8, 4
	s_delay_alu instid0(VALU_DEP_3)
	s_or_b32 s0, vcc_lo, s0
	s_delay_alu instid0(VALU_DEP_2) | instid1(SALU_CYCLE_1)
	s_or_b32 s0, s0, s1
	s_delay_alu instid0(SALU_CYCLE_1)
	s_and_saveexec_b32 s6, s0
	s_cbranch_execz .LBB2_66
; %bb.65:                               ;   in Loop: Header=BB2_6 Depth=1
	v_cmp_le_f64_e32 vcc_lo, 0, v[22:23]
	v_cmp_le_f64_e64 s0, 0, v[20:21]
	v_cmp_le_f64_e64 s1, 0, v[18:19]
	v_cmp_lt_f64_e64 s2, v[22:23], v[34:35]
	v_cmp_lt_f64_e64 s3, v[20:21], v[34:35]
	;; [unrolled: 1-line block ×3, first 2 shown]
	s_and_b32 s0, vcc_lo, s0
	s_delay_alu instid0(VALU_DEP_4) | instid1(SALU_CYCLE_1)
	s_and_b32 s0, s0, s1
	s_delay_alu instid0(VALU_DEP_3) | instid1(SALU_CYCLE_1)
	s_and_b32 s0, s2, s0
	s_delay_alu instid0(VALU_DEP_2) | instid1(SALU_CYCLE_1)
	s_and_b32 s0, s0, s3
	s_delay_alu instid0(VALU_DEP_1) | instid1(SALU_CYCLE_1)
	s_and_b32 s0, s0, s4
	s_delay_alu instid0(SALU_CYCLE_1)
	v_cndmask_b32_e64 v8, v38, 0, s0
.LBB2_66:                               ;   in Loop: Header=BB2_6 Depth=1
	s_or_b32 exec_lo, exec_lo, s6
.LBB2_67:                               ;   in Loop: Header=BB2_6 Depth=1
	s_delay_alu instid0(SALU_CYCLE_1)
	s_or_b32 exec_lo, exec_lo, s5
	scratch_load_b32 v9, v8, off
	s_waitcnt vmcnt(0)
	v_lshl_or_b32 v9, 2, s11, v9
	scratch_store_b32 v8, v9, off
.LBB2_68:                               ;   in Loop: Header=BB2_6 Depth=1
	s_or_b32 exec_lo, exec_lo, s16
	s_cmp_lt_i32 s14, 2
	s_cbranch_scc1 .LBB2_73
; %bb.69:                               ;   in Loop: Header=BB2_6 Depth=1
	s_cmp_gt_i32 s14, 2
	s_cbranch_scc0 .LBB2_74
; %bb.70:                               ;   in Loop: Header=BB2_6 Depth=1
	s_cmp_gt_i32 s14, 3
	s_cbranch_scc0 .LBB2_75
; %bb.71:                               ;   in Loop: Header=BB2_6 Depth=1
	s_cmp_eq_u32 s14, 4
	s_cbranch_scc0 .LBB2_76
; %bb.72:                               ;   in Loop: Header=BB2_6 Depth=1
	v_mov_b32_e32 v8, 0xf0
	s_mov_b32 s0, 0
	s_mov_b32 s5, 0
	;; [unrolled: 1-line block ×5, first 2 shown]
	s_branch .LBB2_77
.LBB2_73:                               ;   in Loop: Header=BB2_6 Depth=1
	s_mov_b32 s0, 0
                                        ; implicit-def: $sgpr2
                                        ; implicit-def: $vgpr9
                                        ; implicit-def: $sgpr3
                                        ; implicit-def: $vgpr14
                                        ; implicit-def: $sgpr4
                                        ; implicit-def: $vgpr15
                                        ; implicit-def: $sgpr5
                                        ; implicit-def: $vgpr8
	s_cbranch_execnz .LBB2_82
	s_branch .LBB2_87
.LBB2_74:                               ;   in Loop: Header=BB2_6 Depth=1
	s_mov_b32 s0, 0
                                        ; implicit-def: $sgpr2
                                        ; implicit-def: $vgpr9
                                        ; implicit-def: $sgpr3
                                        ; implicit-def: $vgpr14
                                        ; implicit-def: $sgpr4
                                        ; implicit-def: $vgpr15
                                        ; implicit-def: $sgpr5
                                        ; implicit-def: $vgpr8
	s_cbranch_execnz .LBB2_80
	s_branch .LBB2_81
.LBB2_75:                               ;   in Loop: Header=BB2_6 Depth=1
	s_mov_b32 s0, 0
                                        ; implicit-def: $sgpr2
                                        ; implicit-def: $vgpr9
                                        ; implicit-def: $sgpr3
                                        ; implicit-def: $vgpr14
                                        ; implicit-def: $sgpr4
                                        ; implicit-def: $vgpr15
                                        ; implicit-def: $sgpr5
                                        ; implicit-def: $vgpr8
	s_cbranch_execnz .LBB2_78
	s_branch .LBB2_79
.LBB2_76:                               ;   in Loop: Header=BB2_6 Depth=1
	s_mov_b32 s0, -1
                                        ; implicit-def: $sgpr2
                                        ; implicit-def: $sgpr3
                                        ; implicit-def: $sgpr4
                                        ; implicit-def: $sgpr5
                                        ; implicit-def: $vgpr8
.LBB2_77:                               ;   in Loop: Header=BB2_6 Depth=1
	v_dual_mov_b32 v9, v58 :: v_dual_mov_b32 v14, v61
	v_mov_b32_e32 v15, v60
	s_branch .LBB2_79
.LBB2_78:                               ;   in Loop: Header=BB2_6 Depth=1
	v_dual_mov_b32 v9, v59 :: v_dual_mov_b32 v8, v58
	v_dual_mov_b32 v14, v63 :: v_dual_mov_b32 v15, v61
	s_mov_b32 s5, 2
	s_mov_b32 s4, 3
	;; [unrolled: 1-line block ×4, first 2 shown]
.LBB2_79:                               ;   in Loop: Header=BB2_6 Depth=1
	s_branch .LBB2_81
.LBB2_80:                               ;   in Loop: Header=BB2_6 Depth=1
	v_dual_mov_b32 v8, 0xf0 :: v_dual_mov_b32 v9, v60
	v_dual_mov_b32 v14, v57 :: v_dual_mov_b32 v15, v62
	s_mov_b32 s5, 0
	s_mov_b32 s4, 4
	;; [unrolled: 1-line block ×4, first 2 shown]
.LBB2_81:                               ;   in Loop: Header=BB2_6 Depth=1
	s_branch .LBB2_87
.LBB2_82:                               ;   in Loop: Header=BB2_6 Depth=1
	s_cmp_gt_i32 s14, 0
	s_cbranch_scc0 .LBB2_84
; %bb.83:                               ;   in Loop: Header=BB2_6 Depth=1
	s_mov_b32 s1, 0
	s_mov_b32 s5, 1
	;; [unrolled: 1-line block ×5, first 2 shown]
	s_branch .LBB2_85
.LBB2_84:                               ;   in Loop: Header=BB2_6 Depth=1
	s_mov_b32 s1, -1
                                        ; implicit-def: $sgpr2
                                        ; implicit-def: $sgpr3
                                        ; implicit-def: $sgpr4
                                        ; implicit-def: $sgpr5
.LBB2_85:                               ;   in Loop: Header=BB2_6 Depth=1
	v_dual_mov_b32 v9, v61 :: v_dual_mov_b32 v14, v63
	v_dual_mov_b32 v15, v57 :: v_dual_mov_b32 v8, v60
	s_and_not1_b32 vcc_lo, exec_lo, s1
	s_cbranch_vccnz .LBB2_87
; %bb.86:                               ;   in Loop: Header=BB2_6 Depth=1
	v_dual_mov_b32 v8, 0xf0 :: v_dual_mov_b32 v9, v62
	v_dual_mov_b32 v14, v59 :: v_dual_mov_b32 v15, v58
	s_cmp_lg_u32 s14, 0
	s_mov_b32 s4, 2
	s_mov_b32 s3, 6
	;; [unrolled: 1-line block ×3, first 2 shown]
	s_cselect_b32 s0, -1, 0
	s_mov_b32 s5, s14
.LBB2_87:                               ;   in Loop: Header=BB2_6 Depth=1
	s_and_b32 vcc_lo, exec_lo, s0
	s_cbranch_vccz .LBB2_89
; %bb.88:                               ;   in Loop: Header=BB2_6 Depth=1
	v_dual_mov_b32 v8, v62 :: v_dual_mov_b32 v15, v59
	v_dual_mov_b32 v14, v63 :: v_dual_mov_b32 v9, v57
	s_mov_b32 s2, 5
	s_mov_b32 s3, 7
	;; [unrolled: 1-line block ×4, first 2 shown]
.LBB2_89:                               ;   in Loop: Header=BB2_6 Depth=1
	scratch_load_b64 v[16:17], v8, off
	scratch_load_b64 v[18:19], v15, off
	;; [unrolled: 1-line block ×4, first 2 shown]
	s_waitcnt vmcnt(2)
	v_add_f64 v[16:17], v[16:17], v[18:19]
	s_waitcnt vmcnt(1)
	s_delay_alu instid0(VALU_DEP_1) | instskip(SKIP_2) | instid1(VALU_DEP_2)
	v_add_f64 v[16:17], v[16:17], v[14:15]
	v_add_f64 v[14:15], v[14:15], -v[0:1]
	s_waitcnt vmcnt(0)
	v_add_f64 v[16:17], v[16:17], v[8:9]
	v_add_f64 v[8:9], v[8:9], -v[0:1]
	s_delay_alu instid0(VALU_DEP_2) | instskip(NEXT) | instid1(VALU_DEP_4)
	v_fma_f64 v[18:19], 0x3fd00000, v[16:17], -v[0:1]
	v_mul_f64 v[16:17], v[32:33], v[14:15]
	s_delay_alu instid0(VALU_DEP_3) | instskip(NEXT) | instid1(VALU_DEP_3)
	v_mul_f64 v[8:9], v[32:33], v[8:9]
	v_mul_f64 v[14:15], v[32:33], v[18:19]
	s_delay_alu instid0(VALU_DEP_3) | instskip(NEXT) | instid1(VALU_DEP_3)
	v_cmp_ngt_f64_e32 vcc_lo, 0, v[16:17]
	v_cmp_ngt_f64_e64 s1, 0, v[8:9]
	s_delay_alu instid0(VALU_DEP_3) | instskip(NEXT) | instid1(VALU_DEP_1)
	v_cmp_ngt_f64_e64 s0, 0, v[14:15]
	s_or_b32 s0, vcc_lo, s0
	s_delay_alu instid0(VALU_DEP_2) | instid1(SALU_CYCLE_1)
	s_or_b32 s0, s0, s1
	s_delay_alu instid0(SALU_CYCLE_1)
	s_and_saveexec_b32 s16, s0
	s_cbranch_execz .LBB2_99
; %bb.90:                               ;   in Loop: Header=BB2_6 Depth=1
	v_cmp_nle_f64_e32 vcc_lo, 1.0, v[16:17]
	v_cmp_nle_f64_e64 s0, 1.0, v[14:15]
	v_cmp_nle_f64_e64 s1, 1.0, v[8:9]
	s_delay_alu instid0(VALU_DEP_2)
	s_or_b32 s0, vcc_lo, s0
	s_delay_alu instid0(VALU_DEP_1) | instid1(SALU_CYCLE_1)
	s_or_b32 s0, s0, s1
	s_delay_alu instid0(SALU_CYCLE_1)
	s_and_b32 exec_lo, exec_lo, s0
	s_cbranch_execz .LBB2_99
; %bb.91:                               ;   in Loop: Header=BB2_6 Depth=1
	s_lshl_b32 s0, s5, 3
	s_lshl_b32 s4, s4, 3
	v_add_nc_u32_e64 v18, 0xf0, s0
	s_add_i32 s0, s4, 0xf0
	s_lshl_b32 s3, s3, 3
	s_lshl_b32 s2, s2, 3
	s_delay_alu instid0(VALU_DEP_1)
	v_add_nc_u32_e32 v19, 64, v18
	s_clause 0x1
	scratch_load_b64 v[19:20], v19, off
	scratch_load_b64 v[21:22], off, s0 offset:64
	s_add_i32 s0, s3, 0xf0
	scratch_load_b64 v[23:24], off, s0 offset:64
	s_add_i32 s0, s2, 0xf0
	scratch_load_b64 v[25:26], off, s0 offset:64
	s_waitcnt vmcnt(2)
	v_add_f64 v[19:20], v[19:20], v[21:22]
	s_waitcnt vmcnt(1)
	v_add_f64 v[21:22], v[23:24], -v[4:5]
	s_delay_alu instid0(VALU_DEP_2) | instskip(SKIP_2) | instid1(VALU_DEP_3)
	v_add_f64 v[19:20], v[19:20], v[23:24]
	s_waitcnt vmcnt(0)
	v_add_f64 v[23:24], v[25:26], -v[4:5]
	v_mul_f64 v[36:37], v[30:31], v[21:22]
	s_delay_alu instid0(VALU_DEP_3) | instskip(NEXT) | instid1(VALU_DEP_3)
	v_add_f64 v[19:20], v[19:20], v[25:26]
	v_mul_f64 v[24:25], v[30:31], v[23:24]
	s_delay_alu instid0(VALU_DEP_3) | instskip(NEXT) | instid1(VALU_DEP_3)
	v_cmp_ngt_f64_e32 vcc_lo, 0, v[36:37]
	v_fma_f64 v[19:20], 0x3fd00000, v[19:20], -v[4:5]
	s_delay_alu instid0(VALU_DEP_3) | instskip(NEXT) | instid1(VALU_DEP_2)
	v_cmp_ngt_f64_e64 s1, 0, v[24:25]
	v_mul_f64 v[26:27], v[30:31], v[19:20]
	s_delay_alu instid0(VALU_DEP_1) | instskip(NEXT) | instid1(VALU_DEP_1)
	v_cmp_ngt_f64_e64 s0, 0, v[26:27]
	s_or_b32 s0, vcc_lo, s0
	s_delay_alu instid0(VALU_DEP_3) | instid1(SALU_CYCLE_1)
	s_or_b32 s0, s0, s1
	s_delay_alu instid0(SALU_CYCLE_1)
	s_and_b32 exec_lo, exec_lo, s0
	s_cbranch_execz .LBB2_99
; %bb.92:                               ;   in Loop: Header=BB2_6 Depth=1
	v_cmp_nle_f64_e32 vcc_lo, 1.0, v[36:37]
	v_cmp_nle_f64_e64 s0, 1.0, v[26:27]
	v_cmp_nle_f64_e64 s1, 1.0, v[24:25]
	s_delay_alu instid0(VALU_DEP_2)
	s_or_b32 s0, vcc_lo, s0
	s_delay_alu instid0(VALU_DEP_1) | instid1(SALU_CYCLE_1)
	s_or_b32 s0, s0, s1
	s_delay_alu instid0(SALU_CYCLE_1)
	s_and_b32 exec_lo, exec_lo, s0
	s_cbranch_execz .LBB2_99
; %bb.93:                               ;   in Loop: Header=BB2_6 Depth=1
	v_add_nc_u32_e32 v18, 0x80, v18
	v_add_nc_u32_e64 v20, 0xf0, s4
	v_add_nc_u32_e64 v22, 0xf0, s3
	;; [unrolled: 1-line block ×3, first 2 shown]
	s_clause 0x3
	scratch_load_b64 v[18:19], v18, off
	scratch_load_b64 v[20:21], v20, off offset:128
	scratch_load_b64 v[22:23], v22, off offset:128
	;; [unrolled: 1-line block ×3, first 2 shown]
	s_waitcnt vmcnt(2)
	v_add_f64 v[18:19], v[18:19], v[20:21]
	s_waitcnt vmcnt(1)
	s_delay_alu instid0(VALU_DEP_1) | instskip(SKIP_2) | instid1(VALU_DEP_2)
	v_add_f64 v[18:19], v[18:19], v[22:23]
	v_add_f64 v[22:23], v[22:23], -v[6:7]
	s_waitcnt vmcnt(0)
	v_add_f64 v[18:19], v[18:19], v[39:40]
	s_delay_alu instid0(VALU_DEP_2) | instskip(NEXT) | instid1(VALU_DEP_2)
	v_cmp_ngt_f64_e32 vcc_lo, 0, v[22:23]
	v_fma_f64 v[20:21], 0x3fd00000, v[18:19], -v[6:7]
	v_add_f64 v[18:19], v[39:40], -v[6:7]
	s_delay_alu instid0(VALU_DEP_2) | instskip(NEXT) | instid1(VALU_DEP_2)
	v_cmp_ngt_f64_e64 s0, 0, v[20:21]
	v_cmp_ngt_f64_e64 s1, 0, v[18:19]
	s_delay_alu instid0(VALU_DEP_2)
	s_or_b32 s0, vcc_lo, s0
	s_delay_alu instid0(VALU_DEP_1) | instid1(SALU_CYCLE_1)
	s_or_b32 s0, s0, s1
	s_delay_alu instid0(SALU_CYCLE_1)
	s_and_b32 exec_lo, exec_lo, s0
	s_cbranch_execz .LBB2_99
; %bb.94:                               ;   in Loop: Header=BB2_6 Depth=1
	v_cmp_le_f64_e32 vcc_lo, 0, v[16:17]
	v_cmp_le_f64_e64 s0, 0, v[14:15]
	v_cmp_le_f64_e64 s1, 0, v[8:9]
	v_cmp_gt_f64_e64 s2, 1.0, v[16:17]
	v_cmp_gt_f64_e64 s3, 1.0, v[14:15]
	;; [unrolled: 1-line block ×3, first 2 shown]
	v_cmp_le_f64_e64 s5, 0, v[36:37]
	v_cmp_le_f64_e64 s6, 0, v[26:27]
	;; [unrolled: 1-line block ×3, first 2 shown]
	v_cmp_gt_f64_e64 s8, 1.0, v[36:37]
	v_cmp_gt_f64_e64 s9, 1.0, v[26:27]
	;; [unrolled: 1-line block ×3, first 2 shown]
	v_mov_b32_e32 v8, 8
	s_and_b32 s0, vcc_lo, s0
	s_delay_alu instid0(SALU_CYCLE_1) | instskip(NEXT) | instid1(SALU_CYCLE_1)
	s_and_b32 s0, s0, s1
	s_and_b32 s0, s2, s0
	s_delay_alu instid0(SALU_CYCLE_1) | instskip(NEXT) | instid1(SALU_CYCLE_1)
	s_and_b32 s0, s0, s3
	s_and_b32 s0, s0, s4
	;; [unrolled: 3-line block ×3, first 2 shown]
	s_delay_alu instid0(SALU_CYCLE_1)
	s_and_b32 s0, s0, s7
	s_delay_alu instid0(VALU_DEP_4) | instid1(SALU_CYCLE_1)
	s_and_b32 s0, s8, s0
	s_delay_alu instid0(VALU_DEP_3) | instid1(SALU_CYCLE_1)
	s_and_b32 s0, s0, s9
	s_delay_alu instid0(VALU_DEP_2) | instid1(SALU_CYCLE_1)
	s_and_b32 s0, s0, s10
	s_delay_alu instid0(SALU_CYCLE_1)
	s_and_saveexec_b32 s5, s0
	s_cbranch_execz .LBB2_98
; %bb.95:                               ;   in Loop: Header=BB2_6 Depth=1
	v_cmp_nge_f64_e32 vcc_lo, v[22:23], v[34:35]
	v_cmp_nge_f64_e64 s0, v[20:21], v[34:35]
	v_cmp_nge_f64_e64 s1, v[18:19], v[34:35]
	v_mov_b32_e32 v8, 4
	s_delay_alu instid0(VALU_DEP_3)
	s_or_b32 s0, vcc_lo, s0
	s_delay_alu instid0(VALU_DEP_2) | instid1(SALU_CYCLE_1)
	s_or_b32 s0, s0, s1
	s_delay_alu instid0(SALU_CYCLE_1)
	s_and_saveexec_b32 s6, s0
	s_cbranch_execz .LBB2_97
; %bb.96:                               ;   in Loop: Header=BB2_6 Depth=1
	v_cmp_le_f64_e32 vcc_lo, 0, v[22:23]
	v_cmp_le_f64_e64 s0, 0, v[20:21]
	v_cmp_le_f64_e64 s1, 0, v[18:19]
	v_cmp_lt_f64_e64 s2, v[22:23], v[34:35]
	v_cmp_lt_f64_e64 s3, v[20:21], v[34:35]
	;; [unrolled: 1-line block ×3, first 2 shown]
	s_and_b32 s0, vcc_lo, s0
	s_delay_alu instid0(VALU_DEP_4) | instid1(SALU_CYCLE_1)
	s_and_b32 s0, s0, s1
	s_delay_alu instid0(VALU_DEP_3) | instid1(SALU_CYCLE_1)
	s_and_b32 s0, s2, s0
	s_delay_alu instid0(VALU_DEP_2) | instid1(SALU_CYCLE_1)
	s_and_b32 s0, s0, s3
	s_delay_alu instid0(VALU_DEP_1) | instid1(SALU_CYCLE_1)
	s_and_b32 s0, s0, s4
	s_delay_alu instid0(SALU_CYCLE_1)
	v_cndmask_b32_e64 v8, v38, 0, s0
.LBB2_97:                               ;   in Loop: Header=BB2_6 Depth=1
	s_or_b32 exec_lo, exec_lo, s6
.LBB2_98:                               ;   in Loop: Header=BB2_6 Depth=1
	s_delay_alu instid0(SALU_CYCLE_1)
	s_or_b32 exec_lo, exec_lo, s5
	scratch_load_b32 v9, v8, off
	s_waitcnt vmcnt(0)
	v_lshl_or_b32 v9, 4, s11, v9
	scratch_store_b32 v8, v9, off
.LBB2_99:                               ;   in Loop: Header=BB2_6 Depth=1
	s_or_b32 exec_lo, exec_lo, s16
	s_cmp_lt_i32 s14, 2
	s_cbranch_scc1 .LBB2_104
; %bb.100:                              ;   in Loop: Header=BB2_6 Depth=1
	s_cmp_gt_i32 s14, 2
	s_cbranch_scc0 .LBB2_105
; %bb.101:                              ;   in Loop: Header=BB2_6 Depth=1
	s_cmp_gt_i32 s14, 3
	s_cbranch_scc0 .LBB2_106
; %bb.102:                              ;   in Loop: Header=BB2_6 Depth=1
	s_cmp_eq_u32 s14, 4
	s_cbranch_scc0 .LBB2_107
; %bb.103:                              ;   in Loop: Header=BB2_6 Depth=1
	v_mov_b32_e32 v8, 0xf0
	s_mov_b32 s0, 0
	s_mov_b32 s5, 0
	;; [unrolled: 1-line block ×5, first 2 shown]
	s_branch .LBB2_108
.LBB2_104:                              ;   in Loop: Header=BB2_6 Depth=1
	s_mov_b32 s0, 0
                                        ; implicit-def: $sgpr2
                                        ; implicit-def: $vgpr9
                                        ; implicit-def: $sgpr3
                                        ; implicit-def: $vgpr14
                                        ; implicit-def: $sgpr4
                                        ; implicit-def: $vgpr15
                                        ; implicit-def: $sgpr5
                                        ; implicit-def: $vgpr8
	s_cbranch_execnz .LBB2_113
	s_branch .LBB2_118
.LBB2_105:                              ;   in Loop: Header=BB2_6 Depth=1
	s_mov_b32 s0, 0
                                        ; implicit-def: $sgpr2
                                        ; implicit-def: $vgpr9
                                        ; implicit-def: $sgpr3
                                        ; implicit-def: $vgpr14
                                        ; implicit-def: $sgpr4
                                        ; implicit-def: $vgpr15
                                        ; implicit-def: $sgpr5
                                        ; implicit-def: $vgpr8
	s_cbranch_execnz .LBB2_111
	s_branch .LBB2_112
.LBB2_106:                              ;   in Loop: Header=BB2_6 Depth=1
	s_mov_b32 s0, 0
                                        ; implicit-def: $sgpr2
                                        ; implicit-def: $vgpr9
                                        ; implicit-def: $sgpr3
                                        ; implicit-def: $vgpr14
                                        ; implicit-def: $sgpr4
                                        ; implicit-def: $vgpr15
                                        ; implicit-def: $sgpr5
                                        ; implicit-def: $vgpr8
	s_cbranch_execnz .LBB2_109
	s_branch .LBB2_110
.LBB2_107:                              ;   in Loop: Header=BB2_6 Depth=1
	s_mov_b32 s0, -1
                                        ; implicit-def: $sgpr2
                                        ; implicit-def: $sgpr3
                                        ; implicit-def: $sgpr4
                                        ; implicit-def: $sgpr5
                                        ; implicit-def: $vgpr8
.LBB2_108:                              ;   in Loop: Header=BB2_6 Depth=1
	v_dual_mov_b32 v9, v58 :: v_dual_mov_b32 v14, v61
	v_mov_b32_e32 v15, v60
	s_branch .LBB2_110
.LBB2_109:                              ;   in Loop: Header=BB2_6 Depth=1
	v_dual_mov_b32 v9, v59 :: v_dual_mov_b32 v8, v58
	v_dual_mov_b32 v14, v63 :: v_dual_mov_b32 v15, v61
	s_mov_b32 s5, 2
	s_mov_b32 s4, 3
	;; [unrolled: 1-line block ×4, first 2 shown]
.LBB2_110:                              ;   in Loop: Header=BB2_6 Depth=1
	s_branch .LBB2_112
.LBB2_111:                              ;   in Loop: Header=BB2_6 Depth=1
	v_dual_mov_b32 v8, 0xf0 :: v_dual_mov_b32 v9, v60
	v_dual_mov_b32 v14, v57 :: v_dual_mov_b32 v15, v62
	s_mov_b32 s5, 0
	s_mov_b32 s4, 4
	;; [unrolled: 1-line block ×4, first 2 shown]
.LBB2_112:                              ;   in Loop: Header=BB2_6 Depth=1
	s_branch .LBB2_118
.LBB2_113:                              ;   in Loop: Header=BB2_6 Depth=1
	s_cmp_gt_i32 s14, 0
	s_cbranch_scc0 .LBB2_115
; %bb.114:                              ;   in Loop: Header=BB2_6 Depth=1
	s_mov_b32 s1, 0
	s_mov_b32 s5, 1
	;; [unrolled: 1-line block ×5, first 2 shown]
	s_branch .LBB2_116
.LBB2_115:                              ;   in Loop: Header=BB2_6 Depth=1
	s_mov_b32 s1, -1
                                        ; implicit-def: $sgpr2
                                        ; implicit-def: $sgpr3
                                        ; implicit-def: $sgpr4
                                        ; implicit-def: $sgpr5
.LBB2_116:                              ;   in Loop: Header=BB2_6 Depth=1
	v_dual_mov_b32 v9, v61 :: v_dual_mov_b32 v14, v63
	v_dual_mov_b32 v15, v57 :: v_dual_mov_b32 v8, v60
	s_and_not1_b32 vcc_lo, exec_lo, s1
	s_cbranch_vccnz .LBB2_118
; %bb.117:                              ;   in Loop: Header=BB2_6 Depth=1
	v_dual_mov_b32 v8, 0xf0 :: v_dual_mov_b32 v9, v62
	v_dual_mov_b32 v14, v59 :: v_dual_mov_b32 v15, v58
	s_cmp_lg_u32 s14, 0
	s_mov_b32 s4, 2
	s_mov_b32 s3, 6
	;; [unrolled: 1-line block ×3, first 2 shown]
	s_cselect_b32 s0, -1, 0
	s_mov_b32 s5, s14
.LBB2_118:                              ;   in Loop: Header=BB2_6 Depth=1
	s_and_b32 vcc_lo, exec_lo, s0
	s_cbranch_vccz .LBB2_120
; %bb.119:                              ;   in Loop: Header=BB2_6 Depth=1
	v_dual_mov_b32 v8, v62 :: v_dual_mov_b32 v15, v59
	v_dual_mov_b32 v14, v63 :: v_dual_mov_b32 v9, v57
	s_mov_b32 s2, 5
	s_mov_b32 s3, 7
	;; [unrolled: 1-line block ×4, first 2 shown]
.LBB2_120:                              ;   in Loop: Header=BB2_6 Depth=1
	scratch_load_b64 v[16:17], v8, off
	scratch_load_b64 v[18:19], v15, off
	;; [unrolled: 1-line block ×4, first 2 shown]
	s_waitcnt vmcnt(2)
	v_add_f64 v[18:19], v[16:17], v[18:19]
	s_waitcnt vmcnt(1)
	s_delay_alu instid0(VALU_DEP_1) | instskip(SKIP_2) | instid1(VALU_DEP_2)
	v_add_f64 v[14:15], v[18:19], v[14:15]
	v_add_f64 v[18:19], v[16:17], -v[0:1]
	s_waitcnt vmcnt(0)
	v_add_f64 v[14:15], v[14:15], v[8:9]
	v_add_f64 v[8:9], v[8:9], -v[0:1]
	s_delay_alu instid0(VALU_DEP_2) | instskip(NEXT) | instid1(VALU_DEP_2)
	v_fma_f64 v[14:15], 0x3fd00000, v[14:15], -v[0:1]
	v_mul_f64 v[16:17], v[32:33], v[8:9]
	v_mul_f64 v[8:9], v[32:33], v[18:19]
	s_delay_alu instid0(VALU_DEP_3) | instskip(NEXT) | instid1(VALU_DEP_3)
	v_mul_f64 v[14:15], v[32:33], v[14:15]
	v_cmp_ngt_f64_e32 vcc_lo, 0, v[16:17]
	s_delay_alu instid0(VALU_DEP_3) | instskip(NEXT) | instid1(VALU_DEP_3)
	v_cmp_ngt_f64_e64 s1, 0, v[8:9]
	v_cmp_ngt_f64_e64 s0, 0, v[14:15]
	s_delay_alu instid0(VALU_DEP_1)
	s_or_b32 s0, vcc_lo, s0
	s_delay_alu instid0(VALU_DEP_2) | instid1(SALU_CYCLE_1)
	s_or_b32 s0, s0, s1
	s_delay_alu instid0(SALU_CYCLE_1)
	s_and_saveexec_b32 s16, s0
	s_cbranch_execz .LBB2_5
; %bb.121:                              ;   in Loop: Header=BB2_6 Depth=1
	v_cmp_nle_f64_e32 vcc_lo, 1.0, v[16:17]
	v_cmp_nle_f64_e64 s0, 1.0, v[14:15]
	v_cmp_nle_f64_e64 s1, 1.0, v[8:9]
	s_delay_alu instid0(VALU_DEP_2)
	s_or_b32 s0, vcc_lo, s0
	s_delay_alu instid0(VALU_DEP_1) | instid1(SALU_CYCLE_1)
	s_or_b32 s0, s0, s1
	s_delay_alu instid0(SALU_CYCLE_1)
	s_and_b32 exec_lo, exec_lo, s0
	s_cbranch_execz .LBB2_5
; %bb.122:                              ;   in Loop: Header=BB2_6 Depth=1
	s_lshl_b32 s0, s5, 3
	s_lshl_b32 s4, s4, 3
	v_add_nc_u32_e64 v18, 0xf0, s0
	s_add_i32 s0, s4, 0xf0
	s_lshl_b32 s3, s3, 3
	s_lshl_b32 s2, s2, 3
	s_delay_alu instid0(VALU_DEP_1)
	v_add_nc_u32_e32 v19, 64, v18
	s_clause 0x1
	scratch_load_b64 v[19:20], v19, off
	scratch_load_b64 v[21:22], off, s0 offset:64
	s_add_i32 s0, s3, 0xf0
	scratch_load_b64 v[23:24], off, s0 offset:64
	s_add_i32 s0, s2, 0xf0
	scratch_load_b64 v[25:26], off, s0 offset:64
	s_waitcnt vmcnt(2)
	v_add_f64 v[21:22], v[19:20], v[21:22]
	v_add_f64 v[19:20], v[19:20], -v[4:5]
	s_waitcnt vmcnt(1)
	s_delay_alu instid0(VALU_DEP_2) | instskip(SKIP_2) | instid1(VALU_DEP_2)
	v_add_f64 v[21:22], v[21:22], v[23:24]
	s_waitcnt vmcnt(0)
	v_add_f64 v[23:24], v[25:26], -v[4:5]
	v_add_f64 v[21:22], v[21:22], v[25:26]
	s_delay_alu instid0(VALU_DEP_2) | instskip(SKIP_1) | instid1(VALU_DEP_3)
	v_mul_f64 v[36:37], v[30:31], v[23:24]
	v_mul_f64 v[24:25], v[30:31], v[19:20]
	v_fma_f64 v[21:22], 0x3fd00000, v[21:22], -v[4:5]
	s_delay_alu instid0(VALU_DEP_3) | instskip(NEXT) | instid1(VALU_DEP_3)
	v_cmp_ngt_f64_e32 vcc_lo, 0, v[36:37]
	v_cmp_ngt_f64_e64 s1, 0, v[24:25]
	s_delay_alu instid0(VALU_DEP_3) | instskip(NEXT) | instid1(VALU_DEP_1)
	v_mul_f64 v[26:27], v[30:31], v[21:22]
	v_cmp_ngt_f64_e64 s0, 0, v[26:27]
	s_delay_alu instid0(VALU_DEP_1)
	s_or_b32 s0, vcc_lo, s0
	s_delay_alu instid0(VALU_DEP_3) | instid1(SALU_CYCLE_1)
	s_or_b32 s0, s0, s1
	s_delay_alu instid0(SALU_CYCLE_1)
	s_and_b32 exec_lo, exec_lo, s0
	s_cbranch_execz .LBB2_5
; %bb.123:                              ;   in Loop: Header=BB2_6 Depth=1
	v_cmp_nle_f64_e32 vcc_lo, 1.0, v[36:37]
	v_cmp_nle_f64_e64 s0, 1.0, v[26:27]
	v_cmp_nle_f64_e64 s1, 1.0, v[24:25]
	s_delay_alu instid0(VALU_DEP_2)
	s_or_b32 s0, vcc_lo, s0
	s_delay_alu instid0(VALU_DEP_1) | instid1(SALU_CYCLE_1)
	s_or_b32 s0, s0, s1
	s_delay_alu instid0(SALU_CYCLE_1)
	s_and_b32 exec_lo, exec_lo, s0
	s_cbranch_execz .LBB2_5
; %bb.124:                              ;   in Loop: Header=BB2_6 Depth=1
	v_add_nc_u32_e32 v18, 0x80, v18
	v_add_nc_u32_e64 v20, 0xf0, s4
	v_add_nc_u32_e64 v22, 0xf0, s3
	;; [unrolled: 1-line block ×3, first 2 shown]
	s_clause 0x3
	scratch_load_b64 v[18:19], v18, off
	scratch_load_b64 v[20:21], v20, off offset:128
	scratch_load_b64 v[22:23], v22, off offset:128
	;; [unrolled: 1-line block ×3, first 2 shown]
	s_waitcnt vmcnt(2)
	v_add_f64 v[20:21], v[18:19], v[20:21]
	v_add_f64 v[18:19], v[18:19], -v[6:7]
	s_waitcnt vmcnt(1)
	s_delay_alu instid0(VALU_DEP_2) | instskip(SKIP_2) | instid1(VALU_DEP_3)
	v_add_f64 v[20:21], v[20:21], v[22:23]
	s_waitcnt vmcnt(0)
	v_add_f64 v[22:23], v[39:40], -v[6:7]
	v_cmp_ngt_f64_e64 s1, 0, v[18:19]
	s_delay_alu instid0(VALU_DEP_3) | instskip(NEXT) | instid1(VALU_DEP_3)
	v_add_f64 v[20:21], v[20:21], v[39:40]
	v_cmp_ngt_f64_e32 vcc_lo, 0, v[22:23]
	s_delay_alu instid0(VALU_DEP_2) | instskip(NEXT) | instid1(VALU_DEP_1)
	v_fma_f64 v[20:21], 0x3fd00000, v[20:21], -v[6:7]
	v_cmp_ngt_f64_e64 s0, 0, v[20:21]
	s_delay_alu instid0(VALU_DEP_1) | instskip(NEXT) | instid1(SALU_CYCLE_1)
	s_or_b32 s0, vcc_lo, s0
	s_or_b32 s0, s0, s1
	s_delay_alu instid0(SALU_CYCLE_1)
	s_and_b32 exec_lo, exec_lo, s0
	s_cbranch_execz .LBB2_5
; %bb.125:                              ;   in Loop: Header=BB2_6 Depth=1
	v_cmp_le_f64_e32 vcc_lo, 0, v[16:17]
	v_cmp_le_f64_e64 s0, 0, v[14:15]
	v_cmp_le_f64_e64 s1, 0, v[8:9]
	v_cmp_gt_f64_e64 s2, 1.0, v[16:17]
	v_cmp_gt_f64_e64 s3, 1.0, v[14:15]
	;; [unrolled: 1-line block ×3, first 2 shown]
	v_cmp_le_f64_e64 s5, 0, v[36:37]
	v_cmp_le_f64_e64 s6, 0, v[26:27]
	;; [unrolled: 1-line block ×3, first 2 shown]
	v_cmp_gt_f64_e64 s8, 1.0, v[36:37]
	v_cmp_gt_f64_e64 s9, 1.0, v[26:27]
	;; [unrolled: 1-line block ×3, first 2 shown]
	v_mov_b32_e32 v8, 8
	s_and_b32 s0, vcc_lo, s0
	s_delay_alu instid0(SALU_CYCLE_1) | instskip(NEXT) | instid1(SALU_CYCLE_1)
	s_and_b32 s0, s0, s1
	s_and_b32 s0, s2, s0
	s_delay_alu instid0(SALU_CYCLE_1) | instskip(NEXT) | instid1(SALU_CYCLE_1)
	s_and_b32 s0, s0, s3
	s_and_b32 s0, s0, s4
	s_delay_alu instid0(SALU_CYCLE_1) | instskip(NEXT) | instid1(SALU_CYCLE_1)
	s_and_b32 s0, s5, s0
	s_and_b32 s0, s0, s6
	s_delay_alu instid0(SALU_CYCLE_1)
	s_and_b32 s0, s0, s7
	s_delay_alu instid0(VALU_DEP_4) | instid1(SALU_CYCLE_1)
	s_and_b32 s0, s8, s0
	s_delay_alu instid0(VALU_DEP_3) | instid1(SALU_CYCLE_1)
	s_and_b32 s0, s0, s9
	s_delay_alu instid0(VALU_DEP_2) | instid1(SALU_CYCLE_1)
	s_and_b32 s0, s0, s10
	s_delay_alu instid0(SALU_CYCLE_1)
	s_and_saveexec_b32 s5, s0
	s_cbranch_execz .LBB2_4
; %bb.126:                              ;   in Loop: Header=BB2_6 Depth=1
	v_cmp_nge_f64_e32 vcc_lo, v[22:23], v[34:35]
	v_cmp_nge_f64_e64 s0, v[20:21], v[34:35]
	v_cmp_nge_f64_e64 s1, v[18:19], v[34:35]
	v_mov_b32_e32 v8, 4
	s_delay_alu instid0(VALU_DEP_3)
	s_or_b32 s0, vcc_lo, s0
	s_delay_alu instid0(VALU_DEP_2) | instid1(SALU_CYCLE_1)
	s_or_b32 s0, s0, s1
	s_delay_alu instid0(SALU_CYCLE_1)
	s_and_saveexec_b32 s6, s0
	s_cbranch_execz .LBB2_3
; %bb.127:                              ;   in Loop: Header=BB2_6 Depth=1
	v_cmp_le_f64_e32 vcc_lo, 0, v[22:23]
	v_cmp_le_f64_e64 s0, 0, v[20:21]
	v_cmp_le_f64_e64 s1, 0, v[18:19]
	v_cmp_lt_f64_e64 s2, v[22:23], v[34:35]
	v_cmp_lt_f64_e64 s3, v[20:21], v[34:35]
	;; [unrolled: 1-line block ×3, first 2 shown]
	s_and_b32 s0, vcc_lo, s0
	s_delay_alu instid0(VALU_DEP_4) | instid1(SALU_CYCLE_1)
	s_and_b32 s0, s0, s1
	s_delay_alu instid0(VALU_DEP_3) | instid1(SALU_CYCLE_1)
	s_and_b32 s0, s2, s0
	s_delay_alu instid0(VALU_DEP_2) | instid1(SALU_CYCLE_1)
	s_and_b32 s0, s0, s3
	s_delay_alu instid0(VALU_DEP_1) | instid1(SALU_CYCLE_1)
	s_and_b32 s0, s0, s4
	s_delay_alu instid0(SALU_CYCLE_1)
	v_cndmask_b32_e64 v8, v38, 0, s0
	s_branch .LBB2_3
.LBB2_128:
	scratch_load_b32 v8, off, off offset:8
	s_mov_b32 s0, exec_lo
	s_waitcnt vmcnt(0)
	v_dual_mov_b32 v40, 0 :: v_dual_and_b32 v9, 1, v8
	s_delay_alu instid0(VALU_DEP_1)
	v_cmpx_eq_u32_e32 1, v9
	s_cbranch_execz .LBB2_130
; %bb.129:
	v_dual_mov_b32 v9, 0 :: v_dual_mov_b32 v40, 1
	scratch_store_b8 off, v9, off offset:16
.LBB2_130:
	s_or_b32 exec_lo, exec_lo, s0
	v_and_b32_e32 v9, 2, v8
	s_mov_b32 s0, exec_lo
	s_delay_alu instid0(VALU_DEP_1)
	v_cmpx_ne_u32_e32 0, v9
	s_cbranch_execz .LBB2_132
; %bb.131:
	v_add_nc_u32_e32 v9, 1, v40
	v_or_b32_e32 v14, 16, v40
	s_delay_alu instid0(VALU_DEP_2)
	v_dual_mov_b32 v15, 1 :: v_dual_mov_b32 v40, v9
	scratch_store_b8 v14, v15, off
.LBB2_132:
	s_or_b32 exec_lo, exec_lo, s0
	v_and_b32_e32 v9, 4, v8
	s_mov_b32 s0, exec_lo
	s_delay_alu instid0(VALU_DEP_1)
	v_cmpx_ne_u32_e32 0, v9
	s_cbranch_execz .LBB2_134
; %bb.133:
	v_or_b32_e32 v9, 16, v40
	v_mov_b32_e32 v14, 2
	v_add_nc_u32_e32 v40, 1, v40
	scratch_store_b8 v9, v14, off
.LBB2_134:
	s_or_b32 exec_lo, exec_lo, s0
	v_and_b32_e32 v9, 8, v8
	s_mov_b32 s0, exec_lo
	s_delay_alu instid0(VALU_DEP_1)
	v_cmpx_ne_u32_e32 0, v9
	s_cbranch_execz .LBB2_136
; %bb.135:
	v_or_b32_e32 v9, 16, v40
	v_mov_b32_e32 v14, 3
	v_add_nc_u32_e32 v40, 1, v40
	scratch_store_b8 v9, v14, off
.LBB2_136:
	;; [unrolled: 12-line block ×3, first 2 shown]
	s_or_b32 exec_lo, exec_lo, s0
	v_and_b32_e32 v9, 32, v8
	s_mov_b32 s0, exec_lo
	s_delay_alu instid0(VALU_DEP_1)
	v_cmpx_ne_u32_e32 0, v9
	s_cbranch_execz .LBB2_140
; %bb.139:
	v_dual_mov_b32 v9, 5 :: v_dual_add_nc_u32 v14, 1, v40
	scratch_store_b8 v40, v9, off offset:16
	v_mov_b32_e32 v40, v14
.LBB2_140:
	s_or_b32 exec_lo, exec_lo, s0
	v_and_b32_e32 v9, 64, v8
	s_mov_b32 s0, exec_lo
	s_delay_alu instid0(VALU_DEP_1)
	v_cmpx_ne_u32_e32 0, v9
	s_cbranch_execz .LBB2_142
; %bb.141:
	v_dual_mov_b32 v9, 6 :: v_dual_add_nc_u32 v14, 1, v40
	scratch_store_b8 v40, v9, off offset:16
	v_mov_b32_e32 v40, v14
.LBB2_142:
	;; [unrolled: 11-line block ×19, first 2 shown]
	s_or_b32 exec_lo, exec_lo, s0
	v_mul_f64 v[36:37], v[10:11], 0.5
	v_mul_f64 v[38:39], v[12:13], 0.5
	v_mov_b32_e32 v10, 0
	v_dual_mov_b32 v11, 0 :: v_dual_and_b32 v8, 63, v28
	s_mov_b32 s7, 0
	s_mov_b64 s[2:3], 0
	s_mov_b32 s6, exec_lo
	s_delay_alu instid0(VALU_DEP_1)
	v_mul_u32_u24_e32 v65, 0xf8, v8
	v_dual_mov_b32 v8, v10 :: v_dual_mov_b32 v9, v11
	v_dual_mov_b32 v15, v11 :: v_dual_mov_b32 v14, v10
	;; [unrolled: 1-line block ×3, first 2 shown]
	v_cmpx_ne_u32_e32 0, v40
	s_cbranch_execz .LBB2_340
; %bb.177:
	v_dual_mov_b32 v12, 0 :: v_dual_add_nc_u32 v69, 0xa8, v65
	v_dual_mov_b32 v13, 0 :: v_dual_add_nc_u32 v68, 8, v65
	;; [unrolled: 1-line block ×3, first 2 shown]
	v_add_nc_u32_e32 v70, 16, v65
	s_delay_alu instid0(VALU_DEP_4)
	v_dual_mov_b32 v8, v12 :: v_dual_add_nc_u32 v73, 0x98, v65
	v_dual_mov_b32 v10, v12 :: v_dual_add_nc_u32 v77, 16, v65
	;; [unrolled: 1-line block ×3, first 2 shown]
	v_mov_b32_e32 v41, v42
	v_dual_mov_b32 v14, v12 :: v_dual_add_nc_u32 v71, 0xb0, v65
	v_dual_mov_b32 v9, v13 :: v_dual_add_nc_u32 v72, 0x58, v65
	;; [unrolled: 1-line block ×4, first 2 shown]
	v_add_nc_u32_e32 v76, -8, v65
	s_mov_b32 s4, 0x55555555
	s_mov_b32 s5, 0x3fd55555
	s_add_i32 s8, 48, 64
	s_branch .LBB2_179
.LBB2_178:                              ;   in Loop: Header=BB2_179 Depth=1
	s_or_b32 exec_lo, exec_lo, s0
	s_add_u32 s2, s2, 1
	s_addc_u32 s3, s3, 0
	s_delay_alu instid0(SALU_CYCLE_1) | instskip(SKIP_1) | instid1(SALU_CYCLE_1)
	v_cmp_eq_u64_e32 vcc_lo, s[2:3], v[40:41]
	s_or_b32 s7, vcc_lo, s7
	s_and_not1_b32 exec_lo, exec_lo, s7
	s_cbranch_execz .LBB2_339
.LBB2_179:                              ; =>This Loop Header: Depth=1
                                        ;     Child Loop BB2_240 Depth 2
                                        ;     Child Loop BB2_254 Depth 2
	;; [unrolled: 1-line block ×11, first 2 shown]
	s_add_i32 s0, s2, 16
                                        ; implicit-def: $vgpr21
                                        ; implicit-def: $vgpr16
                                        ; implicit-def: $vgpr20
                                        ; implicit-def: $vgpr17
                                        ; implicit-def: $vgpr22
                                        ; implicit-def: $vgpr24
                                        ; implicit-def: $vgpr23
	scratch_load_u8 v19, off, s0
	s_mov_b32 s0, exec_lo
	s_waitcnt vmcnt(0)
	v_lshrrev_b32_e32 v18, 2, v19
	s_delay_alu instid0(VALU_DEP_1)
	v_cmpx_lt_i32_e32 1, v18
	s_xor_b32 s0, exec_lo, s0
	s_cbranch_execz .LBB2_193
; %bb.180:                              ;   in Loop: Header=BB2_179 Depth=1
	s_mov_b32 s1, exec_lo
                                        ; implicit-def: $vgpr21
                                        ; implicit-def: $vgpr16
                                        ; implicit-def: $vgpr20
                                        ; implicit-def: $vgpr17
                                        ; implicit-def: $vgpr22
                                        ; implicit-def: $vgpr24
                                        ; implicit-def: $vgpr23
	v_cmpx_lt_i32_e32 2, v18
	s_xor_b32 s1, exec_lo, s1
	s_cbranch_execz .LBB2_190
; %bb.181:                              ;   in Loop: Header=BB2_179 Depth=1
	s_mov_b32 s9, exec_lo
                                        ; implicit-def: $vgpr21
                                        ; implicit-def: $vgpr16
                                        ; implicit-def: $vgpr20
                                        ; implicit-def: $vgpr17
                                        ; implicit-def: $vgpr22
                                        ; implicit-def: $vgpr24
                                        ; implicit-def: $vgpr23
	v_cmpx_lt_i32_e32 3, v18
	s_xor_b32 s9, exec_lo, s9
	s_cbranch_execz .LBB2_187
; %bb.182:                              ;   in Loop: Header=BB2_179 Depth=1
	s_mov_b32 s10, exec_lo
                                        ; implicit-def: $sgpr11
                                        ; implicit-def: $sgpr14
                                        ; implicit-def: $sgpr15
                                        ; implicit-def: $sgpr16
	v_cmpx_ne_u32_e32 4, v18
	s_xor_b32 s10, exec_lo, s10
; %bb.183:                              ;   in Loop: Header=BB2_179 Depth=1
	s_mov_b32 s16, 4
	s_mov_b32 s15, 6
	s_mov_b32 s14, 7
	s_mov_b32 s11, 5
; %bb.184:                              ;   in Loop: Header=BB2_179 Depth=1
	s_or_saveexec_b32 s10, s10
	v_dual_mov_b32 v21, s11 :: v_dual_mov_b32 v20, s14
	v_dual_mov_b32 v22, s15 :: v_dual_mov_b32 v17, v63
	;; [unrolled: 1-line block ×3, first 2 shown]
	v_mov_b32_e32 v16, v57
	v_mov_b32_e32 v24, v59
	s_xor_b32 exec_lo, exec_lo, s10
; %bb.185:                              ;   in Loop: Header=BB2_179 Depth=1
	v_dual_mov_b32 v23, 0xf0 :: v_dual_mov_b32 v20, 3
	v_dual_mov_b32 v21, 2 :: v_dual_mov_b32 v22, 1
	;; [unrolled: 1-line block ×3, first 2 shown]
	v_mov_b32_e32 v16, v58
	v_mov_b32_e32 v24, v60
; %bb.186:                              ;   in Loop: Header=BB2_179 Depth=1
	s_or_b32 exec_lo, exec_lo, s10
.LBB2_187:                              ;   in Loop: Header=BB2_179 Depth=1
	s_and_not1_saveexec_b32 s9, s9
; %bb.188:                              ;   in Loop: Header=BB2_179 Depth=1
	v_dual_mov_b32 v21, 6 :: v_dual_mov_b32 v20, 7
	v_dual_mov_b32 v22, 3 :: v_dual_mov_b32 v17, v63
	v_dual_mov_b32 v18, 2 :: v_dual_mov_b32 v23, v58
	v_mov_b32_e32 v16, v59
	v_mov_b32_e32 v24, v61
; %bb.189:                              ;   in Loop: Header=BB2_179 Depth=1
	s_or_b32 exec_lo, exec_lo, s9
.LBB2_190:                              ;   in Loop: Header=BB2_179 Depth=1
	s_and_not1_saveexec_b32 s1, s1
; %bb.191:                              ;   in Loop: Header=BB2_179 Depth=1
	v_dual_mov_b32 v23, 0xf0 :: v_dual_mov_b32 v20, 5
	v_dual_mov_b32 v21, 1 :: v_dual_mov_b32 v22, 4
	;; [unrolled: 1-line block ×3, first 2 shown]
	v_mov_b32_e32 v16, v60
	v_mov_b32_e32 v24, v62
; %bb.192:                              ;   in Loop: Header=BB2_179 Depth=1
	s_or_b32 exec_lo, exec_lo, s1
.LBB2_193:                              ;   in Loop: Header=BB2_179 Depth=1
	s_and_not1_saveexec_b32 s0, s0
	s_cbranch_execz .LBB2_197
; %bb.194:                              ;   in Loop: Header=BB2_179 Depth=1
	v_dual_mov_b32 v23, 0xf0 :: v_dual_mov_b32 v20, 6
	v_dual_mov_b32 v21, 4 :: v_dual_mov_b32 v22, 2
	;; [unrolled: 1-line block ×3, first 2 shown]
	v_mov_b32_e32 v24, v58
	s_mov_b32 s1, exec_lo
	v_cmpx_lt_i32_e32 0, v18
; %bb.195:                              ;   in Loop: Header=BB2_179 Depth=1
	v_dual_mov_b32 v21, 3 :: v_dual_mov_b32 v20, 7
	v_dual_mov_b32 v22, 5 :: v_dual_mov_b32 v17, v63
	;; [unrolled: 1-line block ×3, first 2 shown]
	v_mov_b32_e32 v16, v61
	v_mov_b32_e32 v24, v57
; %bb.196:                              ;   in Loop: Header=BB2_179 Depth=1
	s_or_b32 exec_lo, exec_lo, s1
.LBB2_197:                              ;   in Loop: Header=BB2_179 Depth=1
	s_delay_alu instid0(SALU_CYCLE_1)
	s_or_b32 exec_lo, exec_lo, s0
	v_lshl_add_u32 v27, v18, 3, 0xf0
	v_lshl_add_u32 v51, v22, 3, 0xf0
	;; [unrolled: 1-line block ×3, first 2 shown]
	scratch_load_b64 v[25:26], v23, off
	scratch_load_b64 v[23:24], v24, off
	s_clause 0x1
	scratch_load_b64 v[43:44], v27, off offset:64
	scratch_load_b64 v[45:46], v51, off offset:64
	scratch_load_b64 v[47:48], v17, off
	s_clause 0x2
	scratch_load_b64 v[49:50], v81, off offset:64
	scratch_load_b64 v[51:52], v51, off offset:128
	;; [unrolled: 1-line block ×3, first 2 shown]
	v_lshl_add_u32 v27, v21, 3, 0xf0
	scratch_load_b64 v[16:17], v16, off
	s_clause 0x2
	scratch_load_b64 v[55:56], v27, off offset:128
	scratch_load_b64 v[79:80], v27, off offset:64
	;; [unrolled: 1-line block ×3, first 2 shown]
	s_mov_b32 s0, exec_lo
	s_waitcnt vmcnt(10)
	v_add_f64 v[23:24], v[25:26], v[23:24]
	s_waitcnt vmcnt(8)
	v_add_f64 v[25:26], v[43:44], v[45:46]
	;; [unrolled: 2-line block ×3, first 2 shown]
	s_delay_alu instid0(VALU_DEP_3) | instskip(NEXT) | instid1(VALU_DEP_3)
	v_add_f64 v[23:24], v[23:24], v[47:48]
	v_add_f64 v[25:26], v[25:26], v[49:50]
	s_waitcnt vmcnt(3)
	s_delay_alu instid0(VALU_DEP_2) | instskip(SKIP_1) | instid1(VALU_DEP_2)
	v_add_f64 v[16:17], v[23:24], v[16:17]
	s_waitcnt vmcnt(1)
	v_add_f64 v[23:24], v[25:26], v[79:80]
	s_waitcnt vmcnt(0)
	v_add_f64 v[25:26], v[43:44], v[81:82]
	s_delay_alu instid0(VALU_DEP_3) | instskip(NEXT) | instid1(VALU_DEP_3)
	v_fma_f64 v[16:17], 0x3fd00000, v[16:17], -v[0:1]
	v_fma_f64 v[23:24], 0x3fd00000, v[23:24], -v[4:5]
	s_delay_alu instid0(VALU_DEP_3) | instskip(NEXT) | instid1(VALU_DEP_3)
	v_add_f64 v[25:26], v[25:26], v[55:56]
	v_mul_f64 v[43:44], v[32:33], v[16:17]
	s_delay_alu instid0(VALU_DEP_3) | instskip(NEXT) | instid1(VALU_DEP_3)
	v_mul_f64 v[16:17], v[30:31], v[23:24]
	v_fma_f64 v[23:24], 0x3fd00000, v[25:26], -v[6:7]
	ds_store_2addr_b64 v65, v[43:44], v[16:17] offset0:1 offset1:11
	ds_store_b64 v65, v[23:24] offset:168
	v_and_b32_e32 v23, 3, v19
                                        ; implicit-def: $vgpr19
	s_delay_alu instid0(VALU_DEP_1)
	v_cmpx_lt_i32_e32 1, v23
	s_xor_b32 s0, exec_lo, s0
	s_cbranch_execz .LBB2_203
; %bb.198:                              ;   in Loop: Header=BB2_179 Depth=1
	s_mov_b32 s1, exec_lo
	v_cmpx_lt_i32_e32 2, v23
	s_xor_b32 s1, exec_lo, s1
; %bb.199:                              ;   in Loop: Header=BB2_179 Depth=1
                                        ; implicit-def: $vgpr20
; %bb.200:                              ;   in Loop: Header=BB2_179 Depth=1
	s_delay_alu instid0(SALU_CYCLE_1)
	s_or_saveexec_b32 s1, s1
	v_mov_b32_e32 v19, v21
	s_xor_b32 exec_lo, exec_lo, s1
; %bb.201:                              ;   in Loop: Header=BB2_179 Depth=1
	v_dual_mov_b32 v19, v20 :: v_dual_mov_b32 v18, v21
; %bb.202:                              ;   in Loop: Header=BB2_179 Depth=1
	s_or_b32 exec_lo, exec_lo, s1
                                        ; implicit-def: $vgpr22
                                        ; implicit-def: $vgpr20
                                        ; implicit-def: $vgpr23
.LBB2_203:                              ;   in Loop: Header=BB2_179 Depth=1
	s_and_not1_saveexec_b32 s0, s0
	s_cbranch_execz .LBB2_207
; %bb.204:                              ;   in Loop: Header=BB2_179 Depth=1
	s_mov_b32 s1, exec_lo
	v_cmpx_eq_u32_e32 1, v23
; %bb.205:                              ;   in Loop: Header=BB2_179 Depth=1
	v_mov_b32_e32 v18, v22
	v_mov_b32_e32 v22, v20
; %bb.206:                              ;   in Loop: Header=BB2_179 Depth=1
	s_or_b32 exec_lo, exec_lo, s1
	s_delay_alu instid0(VALU_DEP_2) | instskip(NEXT) | instid1(VALU_DEP_2)
	v_mov_b32_e32 v19, v18
	v_mov_b32_e32 v18, v22
.LBB2_207:                              ;   in Loop: Header=BB2_179 Depth=1
	s_or_b32 exec_lo, exec_lo, s0
	s_delay_alu instid0(VALU_DEP_1) | instskip(NEXT) | instid1(VALU_DEP_2)
	v_lshl_add_u32 v27, v19, 3, 0xf0
	v_lshl_add_u32 v18, v18, 3, 0xf0
	s_mov_b32 s0, 0
	s_mov_b32 s1, exec_lo
                                        ; implicit-def: $sgpr9
                                        ; implicit-def: $sgpr10
                                        ; implicit-def: $sgpr11
	s_delay_alu instid0(VALU_DEP_2) | instskip(NEXT) | instid1(VALU_DEP_2)
	v_add_nc_u32_e32 v19, 64, v27
	v_add_nc_u32_e32 v25, 64, v18
	s_clause 0x3
	scratch_load_b64 v[19:20], v19, off
	scratch_load_b64 v[21:22], v27, off
	;; [unrolled: 1-line block ×4, first 2 shown]
	v_add_nc_u32_e32 v27, 0x80, v27
	v_add_nc_u32_e32 v18, 0x80, v18
	s_clause 0x1
	scratch_load_b64 v[47:48], v27, off
	scratch_load_b64 v[49:50], v18, off
	s_waitcnt vmcnt(5)
	v_add_f64 v[18:19], v[19:20], -v[4:5]
	s_waitcnt vmcnt(4)
	v_add_f64 v[20:21], v[21:22], -v[0:1]
	;; [unrolled: 2-line block ×4, first 2 shown]
	s_delay_alu instid0(VALU_DEP_4) | instskip(NEXT) | instid1(VALU_DEP_4)
	v_mul_f64 v[45:46], v[30:31], v[18:19]
	v_mul_f64 v[26:27], v[32:33], v[20:21]
	s_delay_alu instid0(VALU_DEP_4) | instskip(NEXT) | instid1(VALU_DEP_4)
	v_mul_f64 v[43:44], v[32:33], v[22:23]
	v_mul_f64 v[18:19], v[30:31], v[24:25]
	s_waitcnt vmcnt(1)
	v_add_f64 v[20:21], v[47:48], -v[6:7]
	s_waitcnt vmcnt(0)
	v_add_f64 v[22:23], v[49:50], -v[6:7]
                                        ; implicit-def: $vgpr24_vgpr25
	ds_store_2addr_b64 v65, v[26:27], v[43:44] offset1:2
	ds_store_2addr_b64 v65, v[45:46], v[18:19] offset0:10 offset1:12
	ds_store_2addr_b64 v65, v[20:21], v[22:23] offset0:20 offset1:22
	v_cmpx_ngt_f64_e32 1.0, v[45:46]
	s_xor_b32 s1, exec_lo, s1
	s_cbranch_execz .LBB2_211
; %bb.208:                              ;   in Loop: Header=BB2_179 Depth=1
	s_mov_b32 s11, exec_lo
                                        ; implicit-def: $sgpr9
                                        ; implicit-def: $sgpr10
                                        ; implicit-def: $vgpr24_vgpr25
	v_cmpx_gt_f64_e32 1.0, v[18:19]
	s_xor_b32 s11, exec_lo, s11
	s_cbranch_execz .LBB2_210
; %bb.209:                              ;   in Loop: Header=BB2_179 Depth=1
	v_add_f64 v[24:25], v[45:46], -v[18:19]
	v_add_f64 v[45:46], -v[18:19], 1.0
	v_add_f64 v[26:27], v[26:27], -v[43:44]
	s_mov_b32 s0, exec_lo
	s_mov_b32 s10, 9
	s_mov_b32 s9, 8
	s_delay_alu instid0(VALU_DEP_2) | instskip(SKIP_1) | instid1(VALU_DEP_2)
	v_div_scale_f64 v[47:48], null, v[24:25], v[24:25], v[45:46]
	v_div_scale_f64 v[53:54], vcc_lo, v[45:46], v[24:25], v[45:46]
	v_rcp_f64_e32 v[49:50], v[47:48]
	s_waitcnt_depctr 0xfff
	v_fma_f64 v[51:52], -v[47:48], v[49:50], 1.0
	s_delay_alu instid0(VALU_DEP_1) | instskip(NEXT) | instid1(VALU_DEP_1)
	v_fma_f64 v[49:50], v[49:50], v[51:52], v[49:50]
	v_fma_f64 v[51:52], -v[47:48], v[49:50], 1.0
	s_delay_alu instid0(VALU_DEP_1) | instskip(NEXT) | instid1(VALU_DEP_1)
	v_fma_f64 v[49:50], v[49:50], v[51:52], v[49:50]
	v_mul_f64 v[51:52], v[53:54], v[49:50]
	s_delay_alu instid0(VALU_DEP_1) | instskip(NEXT) | instid1(VALU_DEP_1)
	v_fma_f64 v[47:48], -v[47:48], v[51:52], v[53:54]
	v_div_fmas_f64 v[47:48], v[47:48], v[49:50], v[51:52]
	s_delay_alu instid0(VALU_DEP_1) | instskip(NEXT) | instid1(VALU_DEP_1)
	v_div_fixup_f64 v[24:25], v[47:48], v[24:25], v[45:46]
	v_fma_f64 v[26:27], v[26:27], v[24:25], v[43:44]
	v_mov_b32_e32 v43, v78
	ds_store_2addr_b64 v65, v[26:27], v[42:43] offset0:9 offset1:19
.LBB2_210:                              ;   in Loop: Header=BB2_179 Depth=1
	s_or_b32 exec_lo, exec_lo, s11
	s_mov_b32 s11, 9
	s_and_b32 s0, s0, exec_lo
                                        ; implicit-def: $vgpr26_vgpr27
                                        ; implicit-def: $vgpr45_vgpr46
                                        ; implicit-def: $vgpr43_vgpr44
.LBB2_211:                              ;   in Loop: Header=BB2_179 Depth=1
	s_or_saveexec_b32 s1, s1
	v_dual_mov_b32 v48, s9 :: v_dual_mov_b32 v49, s10
	v_mov_b32_e32 v47, s11
	s_xor_b32 exec_lo, exec_lo, s1
	s_cbranch_execz .LBB2_215
; %bb.212:                              ;   in Loop: Header=BB2_179 Depth=1
	s_mov_b32 s9, s0
	s_mov_b32 s10, exec_lo
	ds_store_2addr_b64 v65, v[26:27], v[45:46] offset0:9 offset1:19
	ds_store_b64 v65, v[20:21] offset:232
                                        ; implicit-def: $sgpr14
                                        ; implicit-def: $sgpr11
                                        ; implicit-def: $vgpr24_vgpr25
	v_cmpx_le_f64_e32 1.0, v[18:19]
	s_cbranch_execz .LBB2_214
; %bb.213:                              ;   in Loop: Header=BB2_179 Depth=1
	v_add_f64 v[24:25], v[18:19], -v[45:46]
	v_add_f64 v[45:46], -v[45:46], 1.0
	v_add_f64 v[43:44], v[43:44], -v[26:27]
	s_mov_b32 s11, 8
	s_mov_b32 s14, 7
	s_or_b32 s9, s0, exec_lo
	s_delay_alu instid0(VALU_DEP_2) | instskip(SKIP_1) | instid1(VALU_DEP_2)
	v_div_scale_f64 v[47:48], null, v[24:25], v[24:25], v[45:46]
	v_div_scale_f64 v[53:54], vcc_lo, v[45:46], v[24:25], v[45:46]
	v_rcp_f64_e32 v[49:50], v[47:48]
	s_waitcnt_depctr 0xfff
	v_fma_f64 v[51:52], -v[47:48], v[49:50], 1.0
	s_delay_alu instid0(VALU_DEP_1) | instskip(NEXT) | instid1(VALU_DEP_1)
	v_fma_f64 v[49:50], v[49:50], v[51:52], v[49:50]
	v_fma_f64 v[51:52], -v[47:48], v[49:50], 1.0
	s_delay_alu instid0(VALU_DEP_1) | instskip(NEXT) | instid1(VALU_DEP_1)
	v_fma_f64 v[49:50], v[49:50], v[51:52], v[49:50]
	v_mul_f64 v[51:52], v[53:54], v[49:50]
	s_delay_alu instid0(VALU_DEP_1) | instskip(NEXT) | instid1(VALU_DEP_1)
	v_fma_f64 v[47:48], -v[47:48], v[51:52], v[53:54]
	v_div_fmas_f64 v[47:48], v[47:48], v[49:50], v[51:52]
	s_delay_alu instid0(VALU_DEP_1) | instskip(NEXT) | instid1(VALU_DEP_1)
	v_div_fixup_f64 v[24:25], v[47:48], v[24:25], v[45:46]
	v_fma_f64 v[26:27], v[43:44], v[24:25], v[26:27]
	v_mov_b32_e32 v43, v78
	ds_store_2addr_b64 v65, v[26:27], v[42:43] offset0:8 offset1:18
.LBB2_214:                              ;   in Loop: Header=BB2_179 Depth=1
	s_or_b32 exec_lo, exec_lo, s10
	v_dual_mov_b32 v27, v23 :: v_dual_mov_b32 v26, v22
	v_mov_b32_e32 v23, v21
	v_dual_mov_b32 v47, 8 :: v_dual_mov_b32 v22, v20
	v_dual_mov_b32 v48, s14 :: v_dual_mov_b32 v49, s11
	s_delay_alu instid0(VALU_DEP_4) | instskip(SKIP_2) | instid1(SALU_CYCLE_1)
	v_dual_mov_b32 v20, v26 :: v_dual_mov_b32 v21, v27
	s_and_not1_b32 s0, s0, exec_lo
	s_and_b32 s9, s9, exec_lo
	s_or_b32 s0, s0, s9
.LBB2_215:                              ;   in Loop: Header=BB2_179 Depth=1
	s_or_b32 exec_lo, exec_lo, s1
	s_and_saveexec_b32 s1, s0
	s_cbranch_execz .LBB2_217
; %bb.216:                              ;   in Loop: Header=BB2_179 Depth=1
	v_add_f64 v[20:21], v[20:21], -v[22:23]
	v_mov_b32_e32 v47, v48
	s_delay_alu instid0(VALU_DEP_2)
	v_fma_f64 v[20:21], v[24:25], v[20:21], v[22:23]
	v_lshl_add_u32 v22, v49, 3, v67
	ds_store_b64 v22, v[20:21]
.LBB2_217:                              ;   in Loop: Header=BB2_179 Depth=1
	s_or_b32 exec_lo, exec_lo, s1
	s_mov_b32 s0, 0
	s_mov_b32 s1, exec_lo
                                        ; implicit-def: $sgpr9
                                        ; implicit-def: $sgpr10
                                        ; implicit-def: $vgpr25
                                        ; implicit-def: $vgpr26
                                        ; implicit-def: $vgpr27
                                        ; implicit-def: $vgpr24
                                        ; implicit-def: $vgpr22_vgpr23
                                        ; implicit-def: $vgpr20_vgpr21
	v_cmpx_ngt_f64_e32 1.0, v[18:19]
	s_xor_b32 s1, exec_lo, s1
	s_cbranch_execz .LBB2_221
; %bb.218:                              ;   in Loop: Header=BB2_179 Depth=1
	s_mov_b32 s11, exec_lo
                                        ; implicit-def: $sgpr9
                                        ; implicit-def: $sgpr10
                                        ; implicit-def: $vgpr22_vgpr23
	v_cmpx_gt_f64_e32 1.0, v[16:17]
; %bb.219:                              ;   in Loop: Header=BB2_179 Depth=1
	v_add_f64 v[22:23], v[18:19], -v[16:17]
	s_mov_b32 s0, exec_lo
	s_mov_b32 s10, 2
	s_mov_b32 s9, -1
; %bb.220:                              ;   in Loop: Header=BB2_179 Depth=1
	s_or_b32 exec_lo, exec_lo, s11
	v_dual_mov_b32 v25, v69 :: v_dual_mov_b32 v26, v70
	v_dual_mov_b32 v27, v68 :: v_dual_mov_b32 v24, v47
	;; [unrolled: 1-line block ×3, first 2 shown]
	s_and_b32 s0, s0, exec_lo
                                        ; implicit-def: $vgpr18_vgpr19
.LBB2_221:                              ;   in Loop: Header=BB2_179 Depth=1
	s_or_saveexec_b32 s1, s1
	v_dual_mov_b32 v44, s9 :: v_dual_mov_b32 v45, s10
	s_xor_b32 exec_lo, exec_lo, s1
	s_cbranch_execz .LBB2_225
; %bb.222:                              ;   in Loop: Header=BB2_179 Depth=1
	v_lshl_add_u32 v20, v47, 3, v65
	v_add_nc_u32_e32 v24, -1, v47
	s_mov_b32 s9, s0
	s_mov_b32 s14, exec_lo
                                        ; implicit-def: $sgpr11
                                        ; implicit-def: $sgpr10
                                        ; implicit-def: $vgpr22_vgpr23
	ds_store_b64 v20, v[18:19] offset:80
	ds_load_b64 v[16:17], v65 offset:16
	s_waitcnt lgkmcnt(0)
	ds_store_b64 v20, v[16:17]
	ds_load_b64 v[16:17], v65 offset:176
	s_waitcnt lgkmcnt(0)
	ds_store_b64 v20, v[16:17] offset:160
	ds_load_b64 v[20:21], v65 offset:88
                                        ; implicit-def: $vgpr16_vgpr17
	s_waitcnt lgkmcnt(0)
	v_cmpx_le_f64_e32 1.0, v[20:21]
	s_cbranch_execz .LBB2_224
; %bb.223:                              ;   in Loop: Header=BB2_179 Depth=1
	ds_load_b64 v[16:17], v65 offset:96
	s_mov_b32 s10, 1
	s_mov_b32 s11, -2
	s_or_b32 s9, s0, exec_lo
	s_waitcnt lgkmcnt(0)
	v_add_f64 v[22:23], v[20:21], -v[16:17]
                                        ; implicit-def: $vgpr20_vgpr21
.LBB2_224:                              ;   in Loop: Header=BB2_179 Depth=1
	s_or_b32 exec_lo, exec_lo, s14
	v_dual_mov_b32 v44, s11 :: v_dual_mov_b32 v45, s10
	v_dual_mov_b32 v25, v71 :: v_dual_mov_b32 v26, v68
	v_mov_b32_e32 v27, v70
	s_and_not1_b32 s0, s0, exec_lo
	s_and_b32 s9, s9, exec_lo
	s_delay_alu instid0(SALU_CYCLE_1)
	s_or_b32 s0, s0, s9
.LBB2_225:                              ;   in Loop: Header=BB2_179 Depth=1
	s_or_b32 exec_lo, exec_lo, s1
	s_and_saveexec_b32 s1, s0
	s_cbranch_execz .LBB2_227
; %bb.226:                              ;   in Loop: Header=BB2_179 Depth=1
	v_add_f64 v[16:17], -v[16:17], 1.0
	v_lshl_add_u32 v24, v24, 3, v65
	v_mov_b32_e32 v43, v78
	ds_store_b64 v24, v[42:43] offset:80
	v_div_scale_f64 v[18:19], null, v[22:23], v[22:23], v[16:17]
	v_div_scale_f64 v[50:51], vcc_lo, v[16:17], v[22:23], v[16:17]
	s_delay_alu instid0(VALU_DEP_2) | instskip(SKIP_2) | instid1(VALU_DEP_1)
	v_rcp_f64_e32 v[20:21], v[18:19]
	s_waitcnt_depctr 0xfff
	v_fma_f64 v[48:49], -v[18:19], v[20:21], 1.0
	v_fma_f64 v[20:21], v[20:21], v[48:49], v[20:21]
	s_delay_alu instid0(VALU_DEP_1) | instskip(NEXT) | instid1(VALU_DEP_1)
	v_fma_f64 v[48:49], -v[18:19], v[20:21], 1.0
	v_fma_f64 v[20:21], v[20:21], v[48:49], v[20:21]
	s_delay_alu instid0(VALU_DEP_1) | instskip(NEXT) | instid1(VALU_DEP_1)
	v_mul_f64 v[48:49], v[50:51], v[20:21]
	v_fma_f64 v[18:19], -v[18:19], v[48:49], v[50:51]
	s_delay_alu instid0(VALU_DEP_1)
	v_div_fmas_f64 v[18:19], v[18:19], v[20:21], v[48:49]
	ds_load_b64 v[20:21], v27
	ds_load_b64 v[26:27], v26
	s_waitcnt lgkmcnt(0)
	v_add_f64 v[26:27], v[26:27], -v[20:21]
	v_div_fixup_f64 v[16:17], v[18:19], v[22:23], v[16:17]
	s_delay_alu instid0(VALU_DEP_1)
	v_fma_f64 v[18:19], v[16:17], v[26:27], v[20:21]
	v_lshl_add_u32 v20, v45, 3, v67
	ds_store_b64 v24, v[18:19]
	ds_load_b64 v[18:19], v25
	ds_load_b64 v[20:21], v20
	s_waitcnt lgkmcnt(0)
	v_add_f64 v[20:21], v[20:21], -v[18:19]
	s_delay_alu instid0(VALU_DEP_1)
	v_fma_f64 v[16:17], v[16:17], v[20:21], v[18:19]
	ds_store_b64 v24, v[16:17] offset:160
	v_add_nc_u32_e32 v24, v44, v47
	ds_load_b64 v[20:21], v65 offset:88
.LBB2_227:                              ;   in Loop: Header=BB2_179 Depth=1
	s_or_b32 exec_lo, exec_lo, s1
	s_mov_b32 s0, 0
	s_mov_b32 s1, exec_lo
                                        ; implicit-def: $sgpr9
                                        ; implicit-def: $sgpr10
                                        ; implicit-def: $vgpr23
                                        ; implicit-def: $vgpr25
                                        ; implicit-def: $vgpr26
                                        ; implicit-def: $vgpr22
                                        ; implicit-def: $vgpr16_vgpr17
                                        ; implicit-def: $vgpr18_vgpr19
	s_waitcnt lgkmcnt(0)
	v_cmpx_ngt_f64_e32 1.0, v[20:21]
	s_xor_b32 s1, exec_lo, s1
	s_cbranch_execz .LBB2_231
; %bb.228:                              ;   in Loop: Header=BB2_179 Depth=1
	ds_load_b64 v[18:19], v66
	s_mov_b32 s11, exec_lo
                                        ; implicit-def: $sgpr9
                                        ; implicit-def: $sgpr10
                                        ; implicit-def: $vgpr16_vgpr17
	s_waitcnt lgkmcnt(0)
	v_cmpx_gt_f64_e32 1.0, v[18:19]
; %bb.229:                              ;   in Loop: Header=BB2_179 Depth=1
	v_add_f64 v[16:17], v[20:21], -v[18:19]
	s_mov_b32 s0, exec_lo
	s_mov_b32 s10, 1
	s_mov_b32 s9, -1
; %bb.230:                              ;   in Loop: Header=BB2_179 Depth=1
	s_or_b32 exec_lo, exec_lo, s11
	v_dual_mov_b32 v23, v67 :: v_dual_mov_b32 v26, v65
	v_mov_b32_e32 v25, v68
	v_mov_b32_e32 v22, v24
	s_and_b32 s0, s0, exec_lo
                                        ; implicit-def: $vgpr20_vgpr21
.LBB2_231:                              ;   in Loop: Header=BB2_179 Depth=1
	s_or_saveexec_b32 s1, s1
	v_dual_mov_b32 v27, s9 :: v_dual_mov_b32 v44, s10
	s_xor_b32 exec_lo, exec_lo, s1
	s_cbranch_execz .LBB2_235
; %bb.232:                              ;   in Loop: Header=BB2_179 Depth=1
	v_lshl_add_u32 v18, v24, 3, v65
	v_add_nc_u32_e32 v22, -1, v24
	s_mov_b32 s9, s0
	s_mov_b32 s14, exec_lo
                                        ; implicit-def: $sgpr11
                                        ; implicit-def: $sgpr10
	ds_store_b64 v18, v[20:21] offset:80
	ds_load_b64 v[16:17], v65 offset:8
	s_waitcnt lgkmcnt(0)
	ds_store_b64 v18, v[16:17]
	ds_load_b64 v[16:17], v65 offset:168
	s_waitcnt lgkmcnt(0)
	ds_store_b64 v18, v[16:17] offset:160
	ds_load_b64 v[20:21], v65 offset:80
                                        ; implicit-def: $vgpr16_vgpr17
                                        ; implicit-def: $vgpr18_vgpr19
	s_waitcnt lgkmcnt(0)
	v_cmpx_le_f64_e32 1.0, v[20:21]
	s_cbranch_execz .LBB2_234
; %bb.233:                              ;   in Loop: Header=BB2_179 Depth=1
	ds_load_b64 v[18:19], v65 offset:88
	s_mov_b32 s10, 0
	s_mov_b32 s11, -2
	s_or_b32 s9, s0, exec_lo
	s_waitcnt lgkmcnt(0)
	v_add_f64 v[16:17], v[20:21], -v[18:19]
.LBB2_234:                              ;   in Loop: Header=BB2_179 Depth=1
	s_or_b32 exec_lo, exec_lo, s14
	v_dual_mov_b32 v27, s11 :: v_dual_mov_b32 v44, s10
	v_dual_mov_b32 v23, v69 :: v_dual_mov_b32 v26, v68
	v_mov_b32_e32 v25, v65
	s_and_not1_b32 s0, s0, exec_lo
	s_and_b32 s9, s9, exec_lo
	s_delay_alu instid0(SALU_CYCLE_1)
	s_or_b32 s0, s0, s9
.LBB2_235:                              ;   in Loop: Header=BB2_179 Depth=1
	s_or_b32 exec_lo, exec_lo, s1
	s_and_saveexec_b32 s1, s0
	s_cbranch_execz .LBB2_237
; %bb.236:                              ;   in Loop: Header=BB2_179 Depth=1
	v_add_f64 v[18:19], -v[18:19], 1.0
	v_mov_b32_e32 v43, v78
	s_delay_alu instid0(VALU_DEP_2) | instskip(SKIP_1) | instid1(VALU_DEP_2)
	v_div_scale_f64 v[20:21], null, v[16:17], v[16:17], v[18:19]
	v_div_scale_f64 v[49:50], vcc_lo, v[18:19], v[16:17], v[18:19]
	v_rcp_f64_e32 v[45:46], v[20:21]
	s_waitcnt_depctr 0xfff
	v_fma_f64 v[47:48], -v[20:21], v[45:46], 1.0
	s_delay_alu instid0(VALU_DEP_1) | instskip(NEXT) | instid1(VALU_DEP_1)
	v_fma_f64 v[45:46], v[45:46], v[47:48], v[45:46]
	v_fma_f64 v[47:48], -v[20:21], v[45:46], 1.0
	s_delay_alu instid0(VALU_DEP_1) | instskip(NEXT) | instid1(VALU_DEP_1)
	v_fma_f64 v[45:46], v[45:46], v[47:48], v[45:46]
	v_mul_f64 v[47:48], v[49:50], v[45:46]
	s_delay_alu instid0(VALU_DEP_1) | instskip(NEXT) | instid1(VALU_DEP_1)
	v_fma_f64 v[20:21], -v[20:21], v[47:48], v[49:50]
	v_div_fmas_f64 v[20:21], v[20:21], v[45:46], v[47:48]
	v_lshl_add_u32 v47, v22, 3, v65
	v_add_nc_u32_e32 v22, v27, v24
	ds_store_b64 v47, v[42:43] offset:80
	ds_load_b64 v[45:46], v26
	ds_load_b64 v[25:26], v25
	s_waitcnt lgkmcnt(0)
	v_add_f64 v[25:26], v[25:26], -v[45:46]
	v_div_fixup_f64 v[16:17], v[20:21], v[16:17], v[18:19]
	v_lshl_add_u32 v20, v44, 3, v67
	s_delay_alu instid0(VALU_DEP_2)
	v_fma_f64 v[18:19], v[16:17], v[25:26], v[45:46]
	ds_store_b64 v47, v[18:19]
	ds_load_b64 v[18:19], v23
	ds_load_b64 v[20:21], v20
	s_waitcnt lgkmcnt(0)
	v_add_f64 v[20:21], v[20:21], -v[18:19]
	s_delay_alu instid0(VALU_DEP_1)
	v_fma_f64 v[16:17], v[16:17], v[20:21], v[18:19]
	ds_store_b64 v47, v[16:17] offset:160
.LBB2_237:                              ;   in Loop: Header=BB2_179 Depth=1
	s_or_b32 exec_lo, exec_lo, s1
	v_add_nc_u32_e32 v16, 1, v22
	v_mov_b32_e32 v44, 0
	s_mov_b32 s0, exec_lo
	s_delay_alu instid0(VALU_DEP_2)
	v_cmpx_ne_u32_e32 10, v16
	s_cbranch_execz .LBB2_251
; %bb.238:                              ;   in Loop: Header=BB2_179 Depth=1
	v_add_co_u32 v18, s1, v22, -9
	v_dual_mov_b32 v17, v42 :: v_dual_mov_b32 v20, 9
	v_lshl_add_u32 v27, v22, 3, v65
	v_add_co_ci_u32_e64 v19, null, 0, -1, s1
	v_dual_mov_b32 v21, 0 :: v_dual_mov_b32 v44, 0
	s_mov_b32 s1, 0
	s_branch .LBB2_240
.LBB2_239:                              ;   in Loop: Header=BB2_240 Depth=2
	s_or_b32 exec_lo, exec_lo, s10
	v_add_co_u32 v18, vcc_lo, v18, 1
	v_add_co_ci_u32_e32 v19, vcc_lo, 0, v19, vcc_lo
	v_add_co_u32 v22, vcc_lo, v16, 1
	v_add_co_ci_u32_e32 v23, vcc_lo, 0, v17, vcc_lo
	s_delay_alu instid0(VALU_DEP_3) | instskip(SKIP_2) | instid1(VALU_DEP_4)
	v_cmp_eq_u64_e32 vcc_lo, 0, v[18:19]
	v_mov_b32_e32 v21, v17
	v_dual_mov_b32 v20, v16 :: v_dual_add_nc_u32 v27, 8, v27
	v_dual_mov_b32 v16, v22 :: v_dual_mov_b32 v17, v23
	s_or_b32 s1, vcc_lo, s1
	s_delay_alu instid0(SALU_CYCLE_1)
	s_and_not1_b32 exec_lo, exec_lo, s1
	s_cbranch_execz .LBB2_250
.LBB2_240:                              ;   Parent Loop BB2_179 Depth=1
                                        ; =>  This Inner Loop Header: Depth=2
	v_lshl_add_u32 v45, v20, 3, v65
	s_mov_b32 s9, 0
	s_mov_b32 s10, exec_lo
                                        ; implicit-def: $vgpr25
                                        ; implicit-def: $vgpr21_vgpr22
                                        ; implicit-def: $vgpr43
	ds_load_b64 v[23:24], v45 offset:80
	s_waitcnt lgkmcnt(0)
	v_cmpx_le_f64_e32 0, v[23:24]
	s_xor_b32 s10, exec_lo, s10
	s_cbranch_execnz .LBB2_243
; %bb.241:                              ;   in Loop: Header=BB2_240 Depth=2
	s_and_not1_saveexec_b32 s10, s10
	s_cbranch_execnz .LBB2_246
.LBB2_242:                              ;   in Loop: Header=BB2_240 Depth=2
	s_or_b32 exec_lo, exec_lo, s10
	s_and_saveexec_b32 s10, s9
	s_cbranch_execz .LBB2_239
	s_branch .LBB2_249
.LBB2_243:                              ;   in Loop: Header=BB2_240 Depth=2
	v_lshl_add_u32 v26, v44, 3, v65
	v_add_nc_u32_e32 v25, 1, v44
	s_mov_b32 s11, exec_lo
                                        ; implicit-def: $vgpr43
	ds_store_b64 v26, v[23:24] offset:80
	ds_load_b64 v[20:21], v45
	s_waitcnt lgkmcnt(0)
	ds_store_b64 v26, v[20:21]
	ds_load_b64 v[20:21], v45 offset:160
	s_waitcnt lgkmcnt(0)
	ds_store_b64 v26, v[20:21] offset:160
	ds_load_b64 v[23:24], v27 offset:88
                                        ; implicit-def: $vgpr21_vgpr22
                                        ; implicit-def: $vgpr20
	s_waitcnt lgkmcnt(0)
	v_cmpx_gt_f64_e32 0, v[23:24]
	s_cbranch_execz .LBB2_245
; %bb.244:                              ;   in Loop: Header=BB2_240 Depth=2
	ds_load_b64 v[20:21], v45 offset:80
	v_add_f64 v[46:47], -v[23:24], 0
	v_mov_b32_e32 v43, v42
	s_mov_b32 s9, exec_lo
	s_waitcnt lgkmcnt(0)
	v_add_f64 v[20:21], v[20:21], -v[23:24]
	v_lshl_add_u32 v24, v44, 3, v72
	s_delay_alu instid0(VALU_DEP_2) | instskip(SKIP_1) | instid1(VALU_DEP_2)
	v_div_scale_f64 v[22:23], null, v[20:21], v[20:21], v[46:47]
	v_div_scale_f64 v[52:53], vcc_lo, v[46:47], v[20:21], v[46:47]
	v_rcp_f64_e32 v[48:49], v[22:23]
	s_waitcnt_depctr 0xfff
	v_fma_f64 v[50:51], -v[22:23], v[48:49], 1.0
	s_delay_alu instid0(VALU_DEP_1) | instskip(NEXT) | instid1(VALU_DEP_1)
	v_fma_f64 v[48:49], v[48:49], v[50:51], v[48:49]
	v_fma_f64 v[50:51], -v[22:23], v[48:49], 1.0
	s_delay_alu instid0(VALU_DEP_1) | instskip(NEXT) | instid1(VALU_DEP_1)
	v_fma_f64 v[48:49], v[48:49], v[50:51], v[48:49]
	v_mul_f64 v[50:51], v[52:53], v[48:49]
	s_delay_alu instid0(VALU_DEP_1) | instskip(NEXT) | instid1(VALU_DEP_1)
	v_fma_f64 v[22:23], -v[22:23], v[50:51], v[52:53]
	v_div_fmas_f64 v[22:23], v[22:23], v[48:49], v[50:51]
	s_delay_alu instid0(VALU_DEP_1)
	v_div_fixup_f64 v[21:22], v[22:23], v[20:21], v[46:47]
	v_add_nc_u32_e32 v20, 10, v18
	ds_store_b64 v24, v[42:43]
	ds_load_b64 v[43:44], v27 offset:8
	ds_load_b64 v[48:49], v45
	s_waitcnt lgkmcnt(0)
	v_add_f64 v[23:24], v[48:49], -v[43:44]
	s_delay_alu instid0(VALU_DEP_1)
	v_fma_f64 v[23:24], v[21:22], v[23:24], v[43:44]
	v_add_nc_u32_e32 v43, 0xa0, v45
	ds_store_b64 v26, v[23:24] offset:8
.LBB2_245:                              ;   in Loop: Header=BB2_240 Depth=2
	s_or_b32 exec_lo, exec_lo, s11
	v_mov_b32_e32 v44, v25
	s_and_b32 s9, s9, exec_lo
                                        ; implicit-def: $vgpr23_vgpr24
                                        ; implicit-def: $vgpr45
	s_and_not1_saveexec_b32 s10, s10
	s_cbranch_execz .LBB2_242
.LBB2_246:                              ;   in Loop: Header=BB2_240 Depth=2
	ds_load_b64 v[25:26], v27 offset:88
	s_mov_b32 s14, s9
	s_mov_b32 s11, exec_lo
                                        ; implicit-def: $vgpr21_vgpr22
                                        ; implicit-def: $vgpr43
	s_waitcnt lgkmcnt(0)
	v_cmpx_le_f64_e32 0, v[25:26]
	s_cbranch_execz .LBB2_248
; %bb.247:                              ;   in Loop: Header=BB2_240 Depth=2
	v_add_f64 v[21:22], v[25:26], -v[23:24]
	v_add_f64 v[23:24], -v[23:24], 0
	v_mov_b32_e32 v43, v42
	s_or_b32 s14, s9, exec_lo
	s_delay_alu instid0(VALU_DEP_2) | instskip(SKIP_1) | instid1(VALU_DEP_2)
	v_div_scale_f64 v[25:26], null, v[21:22], v[21:22], v[23:24]
	v_div_scale_f64 v[50:51], vcc_lo, v[23:24], v[21:22], v[23:24]
	v_rcp_f64_e32 v[46:47], v[25:26]
	s_waitcnt_depctr 0xfff
	v_fma_f64 v[48:49], -v[25:26], v[46:47], 1.0
	s_delay_alu instid0(VALU_DEP_1) | instskip(NEXT) | instid1(VALU_DEP_1)
	v_fma_f64 v[46:47], v[46:47], v[48:49], v[46:47]
	v_fma_f64 v[48:49], -v[25:26], v[46:47], 1.0
	s_delay_alu instid0(VALU_DEP_1) | instskip(NEXT) | instid1(VALU_DEP_1)
	v_fma_f64 v[46:47], v[46:47], v[48:49], v[46:47]
	v_mul_f64 v[48:49], v[50:51], v[46:47]
	s_delay_alu instid0(VALU_DEP_1) | instskip(NEXT) | instid1(VALU_DEP_1)
	v_fma_f64 v[25:26], -v[25:26], v[48:49], v[50:51]
	v_div_fmas_f64 v[25:26], v[25:26], v[46:47], v[48:49]
	v_lshl_add_u32 v49, v44, 3, v65
	ds_store_b64 v49, v[42:43] offset:80
	ds_load_b64 v[45:46], v45
	ds_load_b64 v[47:48], v27 offset:8
	v_add_nc_u32_e32 v43, 0xa8, v27
	v_div_fixup_f64 v[21:22], v[25:26], v[21:22], v[23:24]
	s_waitcnt lgkmcnt(0)
	v_add_f64 v[23:24], v[47:48], -v[45:46]
	s_delay_alu instid0(VALU_DEP_1)
	v_fma_f64 v[23:24], v[21:22], v[23:24], v[45:46]
	ds_store_b64 v49, v[23:24]
.LBB2_248:                              ;   in Loop: Header=BB2_240 Depth=2
	s_or_b32 exec_lo, exec_lo, s11
	v_mov_b32_e32 v25, v44
	s_and_not1_b32 s9, s9, exec_lo
	s_and_b32 s11, s14, exec_lo
	s_delay_alu instid0(SALU_CYCLE_1)
	s_or_b32 s9, s9, s11
	s_or_b32 exec_lo, exec_lo, s10
	s_and_saveexec_b32 s10, s9
	s_cbranch_execz .LBB2_239
.LBB2_249:                              ;   in Loop: Header=BB2_240 Depth=2
	v_lshl_add_u32 v20, v20, 3, v67
	ds_load_b64 v[23:24], v20
	ds_load_b64 v[43:44], v43
	s_waitcnt lgkmcnt(0)
	v_add_f64 v[43:44], v[43:44], -v[23:24]
	s_delay_alu instid0(VALU_DEP_1)
	v_fma_f64 v[20:21], v[21:22], v[43:44], v[23:24]
	v_lshl_add_u32 v22, v25, 3, v67
	v_add_nc_u32_e32 v44, 1, v25
	ds_store_b64 v22, v[20:21]
	s_branch .LBB2_239
.LBB2_250:                              ;   in Loop: Header=BB2_179 Depth=1
	s_or_b32 exec_lo, exec_lo, s1
.LBB2_251:                              ;   in Loop: Header=BB2_179 Depth=1
	s_delay_alu instid0(SALU_CYCLE_1)
	s_or_b32 exec_lo, exec_lo, s0
	v_mov_b32_e32 v17, 0
	s_mov_b32 s1, 0
	s_mov_b32 s0, exec_lo
	v_cmpx_ne_u32_e32 0, v44
	s_cbranch_execz .LBB2_265
; %bb.252:                              ;   in Loop: Header=BB2_179 Depth=1
	v_add_nc_u32_e32 v16, -1, v44
	v_mov_b32_e32 v20, 0
	v_mov_b32_e32 v21, 0
	v_lshl_add_u32 v27, v44, 3, v73
	v_mov_b32_e32 v44, 9
	v_ashrrev_i32_e32 v17, 31, v16
	v_add_co_u32 v18, vcc_lo, v16, 1
	s_delay_alu instid0(VALU_DEP_2)
	v_add_co_ci_u32_e32 v19, vcc_lo, 0, v17, vcc_lo
	s_branch .LBB2_254
.LBB2_253:                              ;   in Loop: Header=BB2_254 Depth=2
	s_or_b32 exec_lo, exec_lo, s10
	v_add_co_u32 v18, vcc_lo, v18, -1
	v_add_co_ci_u32_e32 v19, vcc_lo, -1, v19, vcc_lo
	v_add_co_u32 v22, vcc_lo, v16, -1
	v_add_co_ci_u32_e32 v23, vcc_lo, -1, v17, vcc_lo
	s_delay_alu instid0(VALU_DEP_3)
	v_cmp_eq_u64_e32 vcc_lo, 0, v[18:19]
	v_mov_b32_e32 v21, v17
	v_dual_mov_b32 v20, v16 :: v_dual_add_nc_u32 v27, -8, v27
	v_mov_b32_e32 v16, v22
	v_dual_mov_b32 v44, v25 :: v_dual_mov_b32 v17, v23
	s_or_b32 s1, vcc_lo, s1
	s_delay_alu instid0(SALU_CYCLE_1)
	s_and_not1_b32 exec_lo, exec_lo, s1
	s_cbranch_execz .LBB2_264
.LBB2_254:                              ;   Parent Loop BB2_179 Depth=1
                                        ; =>  This Inner Loop Header: Depth=2
	v_lshl_add_u32 v45, v20, 3, v65
	v_add_nc_u32_e32 v43, 0xffffff60, v27
	s_mov_b32 s9, 0
	s_mov_b32 s10, exec_lo
                                        ; implicit-def: $sgpr11
                                        ; implicit-def: $vgpr25
                                        ; implicit-def: $vgpr21_vgpr22
                                        ; implicit-def: $vgpr26
	ds_load_b64 v[23:24], v45
	s_waitcnt lgkmcnt(0)
	v_cmpx_ngt_f64_e32 1.0, v[23:24]
	s_xor_b32 s10, exec_lo, s10
	s_cbranch_execnz .LBB2_257
; %bb.255:                              ;   in Loop: Header=BB2_254 Depth=2
	s_or_saveexec_b32 s10, s10
	v_mov_b32_e32 v46, s11
	s_xor_b32 exec_lo, exec_lo, s10
	s_cbranch_execnz .LBB2_260
.LBB2_256:                              ;   in Loop: Header=BB2_254 Depth=2
	s_or_b32 exec_lo, exec_lo, s10
	s_and_saveexec_b32 s10, s9
	s_cbranch_execz .LBB2_253
	s_branch .LBB2_263
.LBB2_257:                              ;   in Loop: Header=BB2_254 Depth=2
	ds_load_b64 v[25:26], v43
	s_mov_b32 s14, exec_lo
                                        ; implicit-def: $sgpr11
                                        ; implicit-def: $vgpr21_vgpr22
	s_waitcnt lgkmcnt(0)
	v_cmpx_gt_f64_e32 1.0, v[25:26]
	s_xor_b32 s14, exec_lo, s14
	s_cbranch_execz .LBB2_259
; %bb.258:                              ;   in Loop: Header=BB2_254 Depth=2
	v_add_f64 v[21:22], v[23:24], -v[25:26]
	v_add_f64 v[23:24], -v[25:26], 1.0
	v_mov_b32_e32 v43, v78
	s_mov_b32 s9, exec_lo
	s_mov_b32 s11, -1
	s_delay_alu instid0(VALU_DEP_2) | instskip(SKIP_1) | instid1(VALU_DEP_2)
	v_div_scale_f64 v[25:26], null, v[21:22], v[21:22], v[23:24]
	v_div_scale_f64 v[50:51], vcc_lo, v[23:24], v[21:22], v[23:24]
	v_rcp_f64_e32 v[46:47], v[25:26]
	s_waitcnt_depctr 0xfff
	v_fma_f64 v[48:49], -v[25:26], v[46:47], 1.0
	s_delay_alu instid0(VALU_DEP_1) | instskip(NEXT) | instid1(VALU_DEP_1)
	v_fma_f64 v[46:47], v[46:47], v[48:49], v[46:47]
	v_fma_f64 v[48:49], -v[25:26], v[46:47], 1.0
	s_delay_alu instid0(VALU_DEP_1) | instskip(NEXT) | instid1(VALU_DEP_1)
	v_fma_f64 v[46:47], v[46:47], v[48:49], v[46:47]
	v_mul_f64 v[48:49], v[50:51], v[46:47]
	s_delay_alu instid0(VALU_DEP_1) | instskip(SKIP_1) | instid1(VALU_DEP_2)
	v_fma_f64 v[25:26], -v[25:26], v[48:49], v[50:51]
	v_lshl_add_u32 v50, v44, 3, v65
	v_div_fmas_f64 v[25:26], v[25:26], v[46:47], v[48:49]
	v_add_nc_u32_e32 v46, 0xffffffb0, v27
	ds_store_b64 v50, v[42:43]
	ds_load_b64 v[46:47], v46
	ds_load_b64 v[48:49], v45 offset:80
	v_div_fixup_f64 v[21:22], v[25:26], v[21:22], v[23:24]
	s_waitcnt lgkmcnt(0)
	v_add_f64 v[23:24], v[48:49], -v[46:47]
	s_delay_alu instid0(VALU_DEP_1)
	v_fma_f64 v[23:24], v[21:22], v[23:24], v[46:47]
	ds_store_b64 v50, v[23:24] offset:80
.LBB2_259:                              ;   in Loop: Header=BB2_254 Depth=2
	s_or_b32 exec_lo, exec_lo, s14
	v_dual_mov_b32 v25, v44 :: v_dual_mov_b32 v26, v27
	s_and_b32 s9, s9, exec_lo
                                        ; implicit-def: $vgpr23_vgpr24
                                        ; implicit-def: $vgpr45
                                        ; implicit-def: $vgpr43
	s_or_saveexec_b32 s10, s10
	v_mov_b32_e32 v46, s11
	s_xor_b32 exec_lo, exec_lo, s10
	s_cbranch_execz .LBB2_256
.LBB2_260:                              ;   in Loop: Header=BB2_254 Depth=2
	v_lshl_add_u32 v46, v44, 3, v65
	v_add_nc_u32_e32 v25, -1, v44
	s_mov_b32 s14, s9
	s_mov_b32 s11, exec_lo
                                        ; implicit-def: $sgpr15
                                        ; implicit-def: $vgpr26
	ds_store_b64 v46, v[23:24]
	ds_load_b64 v[20:21], v45 offset:80
	s_waitcnt lgkmcnt(0)
	ds_store_b64 v46, v[20:21] offset:80
	ds_load_b64 v[20:21], v45 offset:160
	s_waitcnt lgkmcnt(0)
	ds_store_b64 v46, v[20:21] offset:160
	ds_load_b64 v[23:24], v43
                                        ; implicit-def: $vgpr21_vgpr22
                                        ; implicit-def: $vgpr20
	s_waitcnt lgkmcnt(0)
	v_cmpx_le_f64_e32 1.0, v[23:24]
	s_cbranch_execz .LBB2_262
; %bb.261:                              ;   in Loop: Header=BB2_254 Depth=2
	ds_load_b64 v[20:21], v45
	v_add_nc_u32_e32 v26, 0xffffffb0, v27
	s_mov_b32 s15, -2
	s_or_b32 s14, s9, exec_lo
	v_mov_b32_e32 v43, v78
	s_waitcnt lgkmcnt(0)
	v_add_f64 v[22:23], v[23:24], -v[20:21]
	v_add_f64 v[20:21], -v[20:21], 1.0
	v_add_nc_u32_e32 v24, -8, v46
	ds_store_b64 v24, v[42:43]
	v_div_scale_f64 v[47:48], null, v[22:23], v[22:23], v[20:21]
	v_div_scale_f64 v[53:54], vcc_lo, v[20:21], v[22:23], v[20:21]
	s_delay_alu instid0(VALU_DEP_2) | instskip(SKIP_2) | instid1(VALU_DEP_1)
	v_rcp_f64_e32 v[49:50], v[47:48]
	s_waitcnt_depctr 0xfff
	v_fma_f64 v[51:52], -v[47:48], v[49:50], 1.0
	v_fma_f64 v[49:50], v[49:50], v[51:52], v[49:50]
	s_delay_alu instid0(VALU_DEP_1) | instskip(NEXT) | instid1(VALU_DEP_1)
	v_fma_f64 v[51:52], -v[47:48], v[49:50], 1.0
	v_fma_f64 v[49:50], v[49:50], v[51:52], v[49:50]
	s_delay_alu instid0(VALU_DEP_1) | instskip(NEXT) | instid1(VALU_DEP_1)
	v_mul_f64 v[51:52], v[53:54], v[49:50]
	v_fma_f64 v[47:48], -v[47:48], v[51:52], v[53:54]
	s_delay_alu instid0(VALU_DEP_1)
	v_div_fmas_f64 v[47:48], v[47:48], v[49:50], v[51:52]
	ds_load_b64 v[49:50], v45 offset:80
	ds_load_b64 v[51:52], v26
	v_add_nc_u32_e32 v26, 0xa0, v45
	v_div_fixup_f64 v[21:22], v[47:48], v[22:23], v[20:21]
	s_waitcnt lgkmcnt(0)
	v_add_f64 v[23:24], v[51:52], -v[49:50]
	v_mov_b32_e32 v20, v16
	s_delay_alu instid0(VALU_DEP_2)
	v_fma_f64 v[23:24], v[21:22], v[23:24], v[49:50]
	ds_store_b64 v46, v[23:24] offset:72
.LBB2_262:                              ;   in Loop: Header=BB2_254 Depth=2
	s_or_b32 exec_lo, exec_lo, s11
	v_mov_b32_e32 v46, s15
	s_and_not1_b32 s9, s9, exec_lo
	s_and_b32 s11, s14, exec_lo
	s_delay_alu instid0(SALU_CYCLE_1)
	s_or_b32 s9, s9, s11
	s_or_b32 exec_lo, exec_lo, s10
	s_and_saveexec_b32 s10, s9
	s_cbranch_execz .LBB2_253
.LBB2_263:                              ;   in Loop: Header=BB2_254 Depth=2
	v_lshl_add_u32 v20, v20, 3, v67
	ds_load_b64 v[23:24], v26
	ds_load_b64 v[47:48], v20
	s_waitcnt lgkmcnt(0)
	v_add_f64 v[47:48], v[47:48], -v[23:24]
	s_delay_alu instid0(VALU_DEP_1)
	v_fma_f64 v[20:21], v[21:22], v[47:48], v[23:24]
	v_lshl_add_u32 v22, v25, 3, v67
	v_add_nc_u32_e32 v25, v46, v44
	ds_store_b64 v22, v[20:21]
	s_branch .LBB2_253
.LBB2_264:                              ;   in Loop: Header=BB2_179 Depth=1
	s_or_b32 exec_lo, exec_lo, s1
	v_add_nc_u32_e32 v17, -9, v25
.LBB2_265:                              ;   in Loop: Header=BB2_179 Depth=1
	s_or_b32 exec_lo, exec_lo, s0
	v_mov_b32_e32 v24, 0
	s_mov_b32 s1, 0
	s_mov_b32 s0, exec_lo
	v_cmpx_ne_u32_e32 0, v17
	s_cbranch_execz .LBB2_279
; %bb.266:                              ;   in Loop: Header=BB2_179 Depth=1
	v_add_nc_u32_e32 v16, 10, v17
	v_mov_b32_e32 v20, 9
	v_mov_b32_e32 v21, 0
	v_lshl_add_u32 v23, v17, 3, v65
	v_mov_b32_e32 v24, 0
	v_ashrrev_i32_e32 v17, 31, v16
	v_add_co_u32 v18, vcc_lo, v16, -10
	s_delay_alu instid0(VALU_DEP_2)
	v_add_co_ci_u32_e32 v19, vcc_lo, -1, v17, vcc_lo
	s_branch .LBB2_268
.LBB2_267:                              ;   in Loop: Header=BB2_268 Depth=2
	s_or_b32 exec_lo, exec_lo, s10
	v_add_co_u32 v18, vcc_lo, v18, 1
	v_add_co_ci_u32_e32 v19, vcc_lo, 0, v19, vcc_lo
	v_add_co_u32 v25, vcc_lo, v16, 1
	v_add_co_ci_u32_e32 v26, vcc_lo, 0, v17, vcc_lo
	s_delay_alu instid0(VALU_DEP_3) | instskip(SKIP_2) | instid1(VALU_DEP_4)
	v_cmp_eq_u64_e32 vcc_lo, 0, v[18:19]
	v_mov_b32_e32 v21, v17
	v_dual_mov_b32 v20, v16 :: v_dual_add_nc_u32 v23, 8, v23
	v_dual_mov_b32 v16, v25 :: v_dual_mov_b32 v17, v26
	s_or_b32 s1, vcc_lo, s1
	s_delay_alu instid0(SALU_CYCLE_1)
	s_and_not1_b32 exec_lo, exec_lo, s1
	s_cbranch_execz .LBB2_278
.LBB2_268:                              ;   Parent Loop BB2_179 Depth=1
                                        ; =>  This Inner Loop Header: Depth=2
	v_lshl_add_u32 v45, v20, 3, v65
	s_mov_b32 s9, 0
	s_mov_b32 s10, exec_lo
                                        ; implicit-def: $vgpr27
                                        ; implicit-def: $vgpr21_vgpr22
                                        ; implicit-def: $vgpr46
	ds_load_b64 v[25:26], v45
	s_waitcnt lgkmcnt(0)
	v_cmpx_le_f64_e32 0, v[25:26]
	s_xor_b32 s10, exec_lo, s10
	s_cbranch_execnz .LBB2_271
; %bb.269:                              ;   in Loop: Header=BB2_268 Depth=2
	s_and_not1_saveexec_b32 s10, s10
	s_cbranch_execnz .LBB2_274
.LBB2_270:                              ;   in Loop: Header=BB2_268 Depth=2
	s_or_b32 exec_lo, exec_lo, s10
	s_and_saveexec_b32 s10, s9
	s_cbranch_execz .LBB2_267
	s_branch .LBB2_277
.LBB2_271:                              ;   in Loop: Header=BB2_268 Depth=2
	v_lshl_add_u32 v44, v24, 3, v65
	v_add_nc_u32_e32 v27, 1, v24
	s_mov_b32 s11, exec_lo
                                        ; implicit-def: $vgpr46
	ds_store_b64 v44, v[25:26]
	ds_load_b64 v[20:21], v45 offset:80
	s_waitcnt lgkmcnt(0)
	ds_store_b64 v44, v[20:21] offset:80
	ds_load_b64 v[20:21], v45 offset:160
	s_waitcnt lgkmcnt(0)
	ds_store_b64 v44, v[20:21] offset:160
	ds_load_b64 v[25:26], v23 offset:80
                                        ; implicit-def: $vgpr21_vgpr22
                                        ; implicit-def: $vgpr20
	s_waitcnt lgkmcnt(0)
	v_cmpx_gt_f64_e32 0, v[25:26]
	s_cbranch_execz .LBB2_273
; %bb.272:                              ;   in Loop: Header=BB2_268 Depth=2
	ds_load_b64 v[20:21], v45
	v_add_f64 v[46:47], -v[25:26], 0
	v_mov_b32_e32 v43, v42
	v_lshl_add_u32 v24, v24, 3, v72
	s_mov_b32 s9, exec_lo
	s_waitcnt lgkmcnt(0)
	v_add_f64 v[20:21], v[20:21], -v[25:26]
	s_delay_alu instid0(VALU_DEP_1) | instskip(SKIP_1) | instid1(VALU_DEP_2)
	v_div_scale_f64 v[25:26], null, v[20:21], v[20:21], v[46:47]
	v_div_scale_f64 v[52:53], vcc_lo, v[46:47], v[20:21], v[46:47]
	v_rcp_f64_e32 v[48:49], v[25:26]
	s_waitcnt_depctr 0xfff
	v_fma_f64 v[50:51], -v[25:26], v[48:49], 1.0
	s_delay_alu instid0(VALU_DEP_1) | instskip(NEXT) | instid1(VALU_DEP_1)
	v_fma_f64 v[48:49], v[48:49], v[50:51], v[48:49]
	v_fma_f64 v[50:51], -v[25:26], v[48:49], 1.0
	s_delay_alu instid0(VALU_DEP_1) | instskip(NEXT) | instid1(VALU_DEP_1)
	v_fma_f64 v[48:49], v[48:49], v[50:51], v[48:49]
	v_mul_f64 v[50:51], v[52:53], v[48:49]
	s_delay_alu instid0(VALU_DEP_1) | instskip(NEXT) | instid1(VALU_DEP_1)
	v_fma_f64 v[25:26], -v[25:26], v[50:51], v[52:53]
	v_div_fmas_f64 v[25:26], v[25:26], v[48:49], v[50:51]
	s_delay_alu instid0(VALU_DEP_1)
	v_div_fixup_f64 v[21:22], v[25:26], v[20:21], v[46:47]
	v_add_nc_u32_e32 v46, 0xa0, v45
	ds_store_b64 v44, v[42:43] offset:8
	ds_load_b64 v[43:44], v23 offset:160
	ds_load_b64 v[48:49], v45 offset:80
	v_mov_b32_e32 v20, v16
	s_waitcnt lgkmcnt(0)
	v_add_f64 v[25:26], v[48:49], -v[43:44]
	s_delay_alu instid0(VALU_DEP_1)
	v_fma_f64 v[25:26], v[21:22], v[25:26], v[43:44]
	ds_store_b64 v24, v[25:26]
.LBB2_273:                              ;   in Loop: Header=BB2_268 Depth=2
	s_or_b32 exec_lo, exec_lo, s11
	v_mov_b32_e32 v24, v27
	s_and_b32 s9, s9, exec_lo
                                        ; implicit-def: $vgpr25_vgpr26
                                        ; implicit-def: $vgpr45
	s_and_not1_saveexec_b32 s10, s10
	s_cbranch_execz .LBB2_270
.LBB2_274:                              ;   in Loop: Header=BB2_268 Depth=2
	ds_load_b64 v[43:44], v23 offset:80
	s_mov_b32 s14, s9
	s_mov_b32 s11, exec_lo
                                        ; implicit-def: $vgpr21_vgpr22
                                        ; implicit-def: $vgpr46
	s_waitcnt lgkmcnt(0)
	v_cmpx_le_f64_e32 0, v[43:44]
	s_cbranch_execz .LBB2_276
; %bb.275:                              ;   in Loop: Header=BB2_268 Depth=2
	v_add_f64 v[21:22], v[43:44], -v[25:26]
	v_add_f64 v[25:26], -v[25:26], 0
	v_lshl_add_u32 v27, v24, 3, v65
	s_or_b32 s14, s9, exec_lo
	s_delay_alu instid0(VALU_DEP_2) | instskip(SKIP_1) | instid1(VALU_DEP_2)
	v_div_scale_f64 v[43:44], null, v[21:22], v[21:22], v[25:26]
	v_div_scale_f64 v[50:51], vcc_lo, v[25:26], v[21:22], v[25:26]
	v_rcp_f64_e32 v[46:47], v[43:44]
	s_waitcnt_depctr 0xfff
	v_fma_f64 v[48:49], -v[43:44], v[46:47], 1.0
	s_delay_alu instid0(VALU_DEP_1) | instskip(NEXT) | instid1(VALU_DEP_1)
	v_fma_f64 v[46:47], v[46:47], v[48:49], v[46:47]
	v_fma_f64 v[48:49], -v[43:44], v[46:47], 1.0
	s_delay_alu instid0(VALU_DEP_1) | instskip(NEXT) | instid1(VALU_DEP_1)
	v_fma_f64 v[46:47], v[46:47], v[48:49], v[46:47]
	v_mul_f64 v[48:49], v[50:51], v[46:47]
	s_delay_alu instid0(VALU_DEP_1) | instskip(NEXT) | instid1(VALU_DEP_1)
	v_fma_f64 v[43:44], -v[43:44], v[48:49], v[50:51]
	v_div_fmas_f64 v[46:47], v[43:44], v[46:47], v[48:49]
	v_mov_b32_e32 v43, v42
	s_delay_alu instid0(VALU_DEP_2)
	v_div_fixup_f64 v[21:22], v[46:47], v[21:22], v[25:26]
	v_add_nc_u32_e32 v46, 0xf0, v23
	ds_store_b64 v27, v[42:43]
	ds_load_b64 v[43:44], v45 offset:80
	ds_load_b64 v[48:49], v23 offset:160
	s_waitcnt lgkmcnt(0)
	v_add_f64 v[25:26], v[48:49], -v[43:44]
	s_delay_alu instid0(VALU_DEP_1)
	v_fma_f64 v[25:26], v[21:22], v[25:26], v[43:44]
	ds_store_b64 v27, v[25:26] offset:80
.LBB2_276:                              ;   in Loop: Header=BB2_268 Depth=2
	s_or_b32 exec_lo, exec_lo, s11
	v_mov_b32_e32 v27, v24
	s_and_not1_b32 s9, s9, exec_lo
	s_and_b32 s11, s14, exec_lo
	s_delay_alu instid0(SALU_CYCLE_1)
	s_or_b32 s9, s9, s11
	s_or_b32 exec_lo, exec_lo, s10
	s_and_saveexec_b32 s10, s9
	s_cbranch_execz .LBB2_267
.LBB2_277:                              ;   in Loop: Header=BB2_268 Depth=2
	v_lshl_add_u32 v20, v20, 3, v67
	ds_load_b64 v[24:25], v20
	ds_load_b64 v[43:44], v46
	s_waitcnt lgkmcnt(0)
	v_add_f64 v[43:44], v[43:44], -v[24:25]
	s_delay_alu instid0(VALU_DEP_1)
	v_fma_f64 v[20:21], v[21:22], v[43:44], v[24:25]
	v_lshl_add_u32 v22, v27, 3, v67
	v_add_nc_u32_e32 v24, 1, v27
	ds_store_b64 v22, v[20:21]
	s_branch .LBB2_267
.LBB2_278:                              ;   in Loop: Header=BB2_179 Depth=1
	s_or_b32 exec_lo, exec_lo, s1
.LBB2_279:                              ;   in Loop: Header=BB2_179 Depth=1
	s_delay_alu instid0(SALU_CYCLE_1) | instskip(SKIP_2) | instid1(VALU_DEP_1)
	s_or_b32 exec_lo, exec_lo, s0
	v_ashrrev_i32_e32 v25, 31, v24
	v_cmp_lt_i32_e64 s0, 0, v24
	s_and_saveexec_b32 s1, s0
	s_cbranch_execz .LBB2_282
; %bb.280:                              ;   in Loop: Header=BB2_179 Depth=1
	v_mov_b32_e32 v18, v65
	v_dual_mov_b32 v16, v24 :: v_dual_mov_b32 v17, v25
	s_mov_b32 s9, 0
	s_mov_b32 s10, s8
	.p2align	6
.LBB2_281:                              ;   Parent Loop BB2_179 Depth=1
                                        ; =>  This Inner Loop Header: Depth=2
	ds_load_2addr_b64 v[19:22], v18 offset1:10
	ds_load_b64 v[26:27], v18 offset:160
	v_add_co_u32 v16, vcc_lo, v16, -1
	v_add_co_ci_u32_e32 v17, vcc_lo, -1, v17, vcc_lo
	v_add_nc_u32_e32 v18, 8, v18
	s_add_i32 s11, s10, 64
	s_waitcnt lgkmcnt(1)
	s_clause 0x1
	scratch_store_b64 off, v[21:22], s10
	scratch_store_b64 off, v[19:20], s10 offset:-64
	v_cmp_eq_u64_e32 vcc_lo, 0, v[16:17]
	s_add_i32 s10, s10, 8
	s_waitcnt lgkmcnt(0)
	scratch_store_b64 off, v[26:27], s11
	s_or_b32 s9, vcc_lo, s9
	s_delay_alu instid0(SALU_CYCLE_1)
	s_and_not1_b32 exec_lo, exec_lo, s9
	s_cbranch_execnz .LBB2_281
.LBB2_282:                              ;   in Loop: Header=BB2_179 Depth=1
	s_or_b32 exec_lo, exec_lo, s1
	v_dual_mov_b32 v23, 9 :: v_dual_add_nc_u32 v26, -1, v24
	v_cmp_ne_u32_e64 s1, 0, v24
	s_delay_alu instid0(VALU_DEP_2) | instskip(NEXT) | instid1(VALU_DEP_2)
	v_ashrrev_i32_e32 v27, 31, v26
	s_and_saveexec_b32 s9, s1
	s_cbranch_execz .LBB2_296
; %bb.283:                              ;   in Loop: Header=BB2_179 Depth=1
	v_add_co_u32 v16, vcc_lo, v26, 1
	v_dual_mov_b32 v20, 0 :: v_dual_mov_b32 v23, 9
	v_dual_mov_b32 v21, 0 :: v_dual_mov_b32 v18, v26
	v_lshl_add_u32 v47, v24, 3, v74
	v_add_co_ci_u32_e32 v17, vcc_lo, 0, v27, vcc_lo
	v_mov_b32_e32 v19, v27
	s_mov_b32 s10, 0
	s_branch .LBB2_285
.LBB2_284:                              ;   in Loop: Header=BB2_285 Depth=2
	s_or_b32 exec_lo, exec_lo, s14
	v_add_co_u32 v16, vcc_lo, v16, -1
	v_add_co_ci_u32_e32 v17, vcc_lo, -1, v17, vcc_lo
	v_add_co_u32 v43, vcc_lo, v18, -1
	v_add_co_ci_u32_e32 v44, vcc_lo, -1, v19, vcc_lo
	s_delay_alu instid0(VALU_DEP_3) | instskip(SKIP_2) | instid1(VALU_DEP_4)
	v_cmp_eq_u64_e32 vcc_lo, 0, v[16:17]
	v_mov_b32_e32 v21, v19
	v_dual_mov_b32 v20, v18 :: v_dual_add_nc_u32 v47, -8, v47
	v_dual_mov_b32 v18, v43 :: v_dual_mov_b32 v19, v44
	s_or_b32 s10, vcc_lo, s10
	s_delay_alu instid0(SALU_CYCLE_1)
	s_and_not1_b32 exec_lo, exec_lo, s10
	s_cbranch_execz .LBB2_295
.LBB2_285:                              ;   Parent Loop BB2_179 Depth=1
                                        ; =>  This Inner Loop Header: Depth=2
	v_lshl_add_u32 v48, v20, 3, v65
	s_mov_b32 s11, 0
	s_mov_b32 s14, exec_lo
                                        ; implicit-def: $vgpr21_vgpr22
                                        ; implicit-def: $vgpr45
	ds_load_b64 v[43:44], v48 offset:160
	s_waitcnt lgkmcnt(0)
	v_cmpx_ge_f64_e32 v[43:44], v[34:35]
	s_xor_b32 s14, exec_lo, s14
	s_cbranch_execnz .LBB2_288
; %bb.286:                              ;   in Loop: Header=BB2_285 Depth=2
	s_and_not1_saveexec_b32 s14, s14
	s_cbranch_execnz .LBB2_291
.LBB2_287:                              ;   in Loop: Header=BB2_285 Depth=2
	s_or_b32 exec_lo, exec_lo, s14
	s_and_saveexec_b32 s14, s11
	s_cbranch_execz .LBB2_284
	s_branch .LBB2_294
.LBB2_288:                              ;   in Loop: Header=BB2_285 Depth=2
	v_lshl_add_u32 v46, v23, 3, v65
	v_add_nc_u32_e32 v23, -1, v23
	s_mov_b32 s15, exec_lo
                                        ; implicit-def: $vgpr45
	ds_store_b64 v46, v[43:44] offset:160
	ds_load_b64 v[20:21], v48
	s_waitcnt lgkmcnt(0)
	ds_store_b64 v46, v[20:21]
	ds_load_b64 v[20:21], v48 offset:80
	s_waitcnt lgkmcnt(0)
	ds_store_b64 v46, v[20:21] offset:80
	ds_load_b64 v[43:44], v47 offset:80
                                        ; implicit-def: $vgpr21_vgpr22
                                        ; implicit-def: $vgpr20
	s_waitcnt lgkmcnt(0)
	v_cmpx_lt_f64_e32 v[43:44], v[34:35]
	s_cbranch_execz .LBB2_290
; %bb.289:                              ;   in Loop: Header=BB2_285 Depth=2
	ds_load_b64 v[20:21], v48 offset:160
	v_add_f64 v[49:50], v[34:35], -v[43:44]
	v_add_nc_u32_e32 v22, 0xffffffb0, v47
	ds_store_b64 v46, v[34:35] offset:152
	v_add_nc_u32_e32 v45, 0x50, v48
	v_add_nc_u32_e32 v46, -8, v46
	s_mov_b32 s11, exec_lo
	s_waitcnt lgkmcnt(1)
	v_add_f64 v[20:21], v[20:21], -v[43:44]
	s_delay_alu instid0(VALU_DEP_1) | instskip(SKIP_1) | instid1(VALU_DEP_2)
	v_div_scale_f64 v[43:44], null, v[20:21], v[20:21], v[49:50]
	v_div_scale_f64 v[55:56], vcc_lo, v[49:50], v[20:21], v[49:50]
	v_rcp_f64_e32 v[51:52], v[43:44]
	s_waitcnt_depctr 0xfff
	v_fma_f64 v[53:54], -v[43:44], v[51:52], 1.0
	s_delay_alu instid0(VALU_DEP_1) | instskip(NEXT) | instid1(VALU_DEP_1)
	v_fma_f64 v[51:52], v[51:52], v[53:54], v[51:52]
	v_fma_f64 v[53:54], -v[43:44], v[51:52], 1.0
	s_delay_alu instid0(VALU_DEP_1) | instskip(NEXT) | instid1(VALU_DEP_1)
	v_fma_f64 v[51:52], v[51:52], v[53:54], v[51:52]
	v_mul_f64 v[53:54], v[55:56], v[51:52]
	s_delay_alu instid0(VALU_DEP_1) | instskip(NEXT) | instid1(VALU_DEP_1)
	v_fma_f64 v[43:44], -v[43:44], v[53:54], v[55:56]
	v_div_fmas_f64 v[43:44], v[43:44], v[51:52], v[53:54]
	ds_load_b64 v[51:52], v48
	ds_load_b64 v[53:54], v22
	v_div_fixup_f64 v[21:22], v[43:44], v[20:21], v[49:50]
	v_mov_b32_e32 v20, v18
	s_waitcnt lgkmcnt(0)
	v_add_f64 v[43:44], v[51:52], -v[53:54]
	s_delay_alu instid0(VALU_DEP_1)
	v_fma_f64 v[43:44], v[21:22], v[43:44], v[53:54]
	ds_store_b64 v46, v[43:44]
.LBB2_290:                              ;   in Loop: Header=BB2_285 Depth=2
	s_or_b32 exec_lo, exec_lo, s15
	s_delay_alu instid0(SALU_CYCLE_1)
	s_and_b32 s11, s11, exec_lo
                                        ; implicit-def: $vgpr43_vgpr44
                                        ; implicit-def: $vgpr48
	s_and_not1_saveexec_b32 s14, s14
	s_cbranch_execz .LBB2_287
.LBB2_291:                              ;   in Loop: Header=BB2_285 Depth=2
	ds_load_b64 v[45:46], v47 offset:80
	s_mov_b32 s16, s11
	s_mov_b32 s15, exec_lo
                                        ; implicit-def: $vgpr21_vgpr22
	s_waitcnt lgkmcnt(0)
	v_cmpx_ge_f64_e32 v[45:46], v[34:35]
	s_cbranch_execz .LBB2_293
; %bb.292:                              ;   in Loop: Header=BB2_285 Depth=2
	v_add_f64 v[21:22], v[45:46], -v[43:44]
	v_add_f64 v[43:44], v[34:35], -v[43:44]
	s_or_b32 s16, s11, exec_lo
	s_delay_alu instid0(VALU_DEP_1) | instskip(SKIP_1) | instid1(VALU_DEP_2)
	v_div_scale_f64 v[45:46], null, v[21:22], v[21:22], v[43:44]
	v_div_scale_f64 v[53:54], vcc_lo, v[43:44], v[21:22], v[43:44]
	v_rcp_f64_e32 v[49:50], v[45:46]
	s_waitcnt_depctr 0xfff
	v_fma_f64 v[51:52], -v[45:46], v[49:50], 1.0
	s_delay_alu instid0(VALU_DEP_1) | instskip(NEXT) | instid1(VALU_DEP_1)
	v_fma_f64 v[49:50], v[49:50], v[51:52], v[49:50]
	v_fma_f64 v[51:52], -v[45:46], v[49:50], 1.0
	s_delay_alu instid0(VALU_DEP_1) | instskip(NEXT) | instid1(VALU_DEP_1)
	v_fma_f64 v[49:50], v[49:50], v[51:52], v[49:50]
	v_mul_f64 v[51:52], v[53:54], v[49:50]
	s_delay_alu instid0(VALU_DEP_1) | instskip(NEXT) | instid1(VALU_DEP_1)
	v_fma_f64 v[45:46], -v[45:46], v[51:52], v[53:54]
	v_div_fmas_f64 v[45:46], v[45:46], v[49:50], v[51:52]
	v_lshl_add_u32 v52, v23, 3, v65
	v_add_nc_u32_e32 v50, 0xffffffb0, v47
	ds_store_b64 v52, v[34:35] offset:160
	ds_load_b64 v[48:49], v48
	ds_load_b64 v[50:51], v50
	v_div_fixup_f64 v[21:22], v[45:46], v[21:22], v[43:44]
	s_waitcnt lgkmcnt(0)
	v_add_f64 v[43:44], v[50:51], -v[48:49]
	s_delay_alu instid0(VALU_DEP_1)
	v_fma_f64 v[43:44], v[21:22], v[43:44], v[48:49]
	ds_store_b64 v52, v[43:44]
.LBB2_293:                              ;   in Loop: Header=BB2_285 Depth=2
	s_or_b32 exec_lo, exec_lo, s15
	v_mov_b32_e32 v45, v47
	s_and_not1_b32 s11, s11, exec_lo
	s_and_b32 s15, s16, exec_lo
	s_delay_alu instid0(SALU_CYCLE_1)
	s_or_b32 s11, s11, s15
	s_or_b32 exec_lo, exec_lo, s14
	s_and_saveexec_b32 s14, s11
	s_cbranch_execz .LBB2_284
.LBB2_294:                              ;   in Loop: Header=BB2_285 Depth=2
	v_lshl_add_u32 v20, v20, 3, v66
	ds_load_b64 v[43:44], v20
	ds_load_b64 v[45:46], v45
	s_waitcnt lgkmcnt(0)
	v_add_f64 v[45:46], v[45:46], -v[43:44]
	s_delay_alu instid0(VALU_DEP_1)
	v_fma_f64 v[20:21], v[21:22], v[45:46], v[43:44]
	v_lshl_add_u32 v22, v23, 3, v66
	v_add_nc_u32_e32 v23, -1, v23
	ds_store_b64 v22, v[20:21]
	s_branch .LBB2_284
.LBB2_295:                              ;   in Loop: Header=BB2_179 Depth=1
	s_or_b32 exec_lo, exec_lo, s10
.LBB2_296:                              ;   in Loop: Header=BB2_179 Depth=1
	s_delay_alu instid0(SALU_CYCLE_1) | instskip(NEXT) | instid1(SALU_CYCLE_1)
	s_or_b32 exec_lo, exec_lo, s9
	s_mov_b32 s9, exec_lo
	v_cmpx_gt_i32_e32 7, v23
	s_cbranch_execz .LBB2_304
; %bb.297:                              ;   in Loop: Header=BB2_179 Depth=1
	v_sub_nc_u32_e32 v53, 9, v23
	v_dual_mov_b32 v54, v42 :: v_dual_lshlrev_b32 v79, 3, v23
	s_mov_b32 s10, 0
	s_delay_alu instid0(VALU_DEP_2) | instskip(NEXT) | instid1(VALU_DEP_2)
	v_mov_b32_e32 v16, v53
	v_dual_mov_b32 v17, v54 :: v_dual_add_nc_u32 v18, v69, v79
.LBB2_298:                              ;   Parent Loop BB2_179 Depth=1
                                        ; =>  This Inner Loop Header: Depth=2
	s_delay_alu instid0(VALU_DEP_2) | instskip(NEXT) | instid1(VALU_DEP_2)
	v_add_co_u32 v16, vcc_lo, v16, -1
	v_add_co_ci_u32_e32 v17, vcc_lo, -1, v17, vcc_lo
	ds_store_b64 v18, v[34:35]
	v_add_nc_u32_e32 v18, 8, v18
	v_cmp_eq_u64_e32 vcc_lo, 0, v[16:17]
	s_or_b32 s10, vcc_lo, s10
	s_delay_alu instid0(SALU_CYCLE_1)
	s_and_not1_b32 exec_lo, exec_lo, s10
	s_cbranch_execnz .LBB2_298
; %bb.299:                              ;   in Loop: Header=BB2_179 Depth=1
	s_or_b32 exec_lo, exec_lo, s10
	v_mov_b32_e32 v45, 0
	v_mov_b32_e32 v46, 0
	s_delay_alu instid0(VALU_DEP_2) | instskip(SKIP_1) | instid1(VALU_DEP_2)
	v_mov_b32_e32 v43, v45
	s_mov_b32 s10, exec_lo
	v_mov_b32_e32 v44, v46
	v_dual_mov_b32 v48, v46 :: v_dual_mov_b32 v47, v45
	v_dual_mov_b32 v50, v46 :: v_dual_mov_b32 v49, v45
	v_cmpx_lt_u32_e32 2, v53
	s_cbranch_execz .LBB2_303
; %bb.300:                              ;   in Loop: Header=BB2_179 Depth=1
	v_lshl_add_u32 v20, v23, 3, v66
	v_add_co_u32 v53, s11, v53, -2
	s_delay_alu instid0(VALU_DEP_1) | instskip(NEXT) | instid1(VALU_DEP_3)
	v_add_co_ci_u32_e64 v54, null, 0, -1, s11
	v_add_nc_u32_e32 v43, 0xffffffb8, v20
	v_subrev_nc_u32_e32 v44, 64, v20
	s_mov_b32 s11, 0
	ds_load_2addr_b64 v[16:19], v20 offset0:1 offset1:2
	ds_load_2addr_b64 v[20:23], v20 offset0:11 offset1:12
	ds_load_b64 v[51:52], v43
	ds_load_b64 v[55:56], v44
	v_mov_b32_e32 v43, 0
	v_dual_mov_b32 v44, 0 :: v_dual_add_nc_u32 v79, v75, v79
	s_delay_alu instid0(VALU_DEP_1)
	v_dual_mov_b32 v50, v44 :: v_dual_mov_b32 v49, v43
	v_dual_mov_b32 v48, v44 :: v_dual_mov_b32 v47, v43
	;; [unrolled: 1-line block ×3, first 2 shown]
.LBB2_301:                              ;   Parent Loop BB2_179 Depth=1
                                        ; =>  This Inner Loop Header: Depth=2
	ds_load_2addr_b64 v[80:83], v79 offset1:10
	s_waitcnt lgkmcnt(3)
	v_add_f64 v[84:85], v[20:21], v[22:23]
	ds_load_b64 v[90:91], v79 offset:160
	s_waitcnt lgkmcnt(2)
	v_add_f64 v[92:93], v[51:52], v[55:56]
	v_add_f64 v[94:95], v[51:52], -v[55:56]
	v_add_co_u32 v53, vcc_lo, v53, -1
	v_add_co_ci_u32_e32 v54, vcc_lo, -1, v54, vcc_lo
	v_add_nc_u32_e32 v79, 8, v79
	s_delay_alu instid0(VALU_DEP_2)
	v_cmp_eq_u64_e32 vcc_lo, 0, v[53:54]
	s_or_b32 s11, vcc_lo, s11
	s_waitcnt lgkmcnt(1)
	v_add_f64 v[86:87], v[18:19], v[82:83]
	v_add_f64 v[88:89], v[55:56], -v[80:81]
	v_add_f64 v[18:19], v[16:17], v[18:19]
	s_waitcnt lgkmcnt(0)
	v_add_f64 v[22:23], v[22:23], v[90:91]
	v_add_f64 v[55:56], v[55:56], v[80:81]
	;; [unrolled: 1-line block ×4, first 2 shown]
	v_add_f64 v[102:103], v[80:81], -v[51:52]
	v_mul_f64 v[96:97], v[84:85], 0.5
	v_fma_f64 v[84:85], v[84:85], 0.5, 0
	v_fma_f64 v[92:93], v[36:37], v[92:93], v[0:1]
	v_mul_f64 v[88:89], v[88:89], v[86:87]
	v_fma_f64 v[104:105], v[38:39], v[18:19], v[4:5]
	v_mul_f64 v[106:107], v[22:23], 0.5
	v_fma_f64 v[55:56], v[36:37], v[55:56], v[0:1]
	v_fma_f64 v[86:87], v[38:39], v[86:87], v[4:5]
	v_fma_f64 v[108:109], v[96:97], 0.5, v[6:7]
	v_fma_f64 v[22:23], v[22:23], 0.5, v[84:85]
	v_fma_f64 v[92:93], v[92:93], v[96:97], 0
	v_fma_f64 v[18:19], v[94:95], v[18:19], v[88:89]
	v_add_f64 v[88:89], v[51:52], v[80:81]
	v_mul_f64 v[94:95], v[98:99], 0.5
	v_fma_f64 v[104:105], v[96:97], v[104:105], 0
	v_fma_f64 v[110:111], v[106:107], 0.5, v[6:7]
	v_fma_f64 v[96:97], v[96:97], v[108:109], 0
	v_fma_f64 v[22:23], v[98:99], 0.5, v[22:23]
	v_fma_f64 v[55:56], v[55:56], v[106:107], v[92:93]
	v_fma_f64 v[18:19], v[102:103], v[100:101], v[18:19]
	;; [unrolled: 1-line block ×4, first 2 shown]
	v_fma_f64 v[84:85], v[94:95], 0.5, v[6:7]
	v_fma_f64 v[86:87], v[106:107], v[86:87], v[104:105]
	v_fma_f64 v[92:93], v[106:107], v[110:111], v[96:97]
	v_mul_f64 v[18:19], v[18:19], 0.5
	v_fma_f64 v[55:56], v[88:89], v[94:95], v[55:56]
	s_delay_alu instid0(VALU_DEP_4) | instskip(NEXT) | instid1(VALU_DEP_4)
	v_fma_f64 v[86:87], v[94:95], v[100:101], v[86:87]
	v_fma_f64 v[84:85], v[94:95], v[84:85], v[92:93]
	s_delay_alu instid0(VALU_DEP_4) | instskip(NEXT) | instid1(VALU_DEP_1)
	v_mul_f64 v[18:19], v[18:19], s[4:5]
	v_fma_f64 v[43:44], v[22:23], v[18:19], v[43:44]
	v_fma_f64 v[49:50], v[18:19], v[55:56], v[49:50]
	;; [unrolled: 1-line block ×4, first 2 shown]
	v_dual_mov_b32 v55, v80 :: v_dual_mov_b32 v18, v82
	v_dual_mov_b32 v19, v83 :: v_dual_mov_b32 v22, v90
	;; [unrolled: 1-line block ×3, first 2 shown]
	s_and_not1_b32 exec_lo, exec_lo, s11
	s_cbranch_execnz .LBB2_301
; %bb.302:                              ;   in Loop: Header=BB2_179 Depth=1
	s_or_b32 exec_lo, exec_lo, s11
.LBB2_303:                              ;   in Loop: Header=BB2_179 Depth=1
	s_delay_alu instid0(SALU_CYCLE_1)
	s_or_b32 exec_lo, exec_lo, s10
	v_fma_f64 v[12:13], v[2:3], v[43:44], v[12:13]
	v_fma_f64 v[14:15], v[2:3], v[49:50], v[14:15]
	;; [unrolled: 1-line block ×4, first 2 shown]
.LBB2_304:                              ;   in Loop: Header=BB2_179 Depth=1
	s_or_b32 exec_lo, exec_lo, s9
	s_and_saveexec_b32 s9, s0
	s_cbranch_execz .LBB2_307
; %bb.305:                              ;   in Loop: Header=BB2_179 Depth=1
	v_mov_b32_e32 v18, v65
	v_dual_mov_b32 v16, v24 :: v_dual_mov_b32 v17, v25
	s_mov_b32 s0, 0
	s_mov_b32 s10, s8
	.p2align	6
.LBB2_306:                              ;   Parent Loop BB2_179 Depth=1
                                        ; =>  This Inner Loop Header: Depth=2
	s_delay_alu instid0(SALU_CYCLE_1)
	s_add_i32 s11, s10, 64
	s_clause 0x2
	scratch_load_b64 v[19:20], off, s10
	scratch_load_b64 v[21:22], off, s10 offset:-64
	scratch_load_b64 v[43:44], off, s11
	v_add_co_u32 v16, vcc_lo, v16, -1
	v_add_co_ci_u32_e32 v17, vcc_lo, -1, v17, vcc_lo
	s_add_i32 s10, s10, 8
	s_waitcnt vmcnt(1)
	ds_store_2addr_b64 v18, v[21:22], v[19:20] offset1:10
	s_waitcnt vmcnt(0)
	ds_store_b64 v18, v[43:44] offset:160
	v_cmp_eq_u64_e32 vcc_lo, 0, v[16:17]
	v_add_nc_u32_e32 v18, 8, v18
	s_or_b32 s0, vcc_lo, s0
	s_delay_alu instid0(SALU_CYCLE_1)
	s_and_not1_b32 exec_lo, exec_lo, s0
	s_cbranch_execnz .LBB2_306
.LBB2_307:                              ;   in Loop: Header=BB2_179 Depth=1
	s_or_b32 exec_lo, exec_lo, s9
	v_mov_b32_e32 v17, 0
	s_and_saveexec_b32 s0, s1
	s_cbranch_execz .LBB2_321
; %bb.308:                              ;   in Loop: Header=BB2_179 Depth=1
	v_add_co_u32 v16, vcc_lo, v26, 1
	v_lshl_add_u32 v25, v24, 3, v76
	v_add_co_ci_u32_e32 v17, vcc_lo, 0, v27, vcc_lo
	v_dual_mov_b32 v18, 0 :: v_dual_mov_b32 v43, 9
	s_mov_b32 s1, 0
	v_mov_b32_e32 v19, 0
	s_branch .LBB2_310
.LBB2_309:                              ;   in Loop: Header=BB2_310 Depth=2
	s_or_b32 exec_lo, exec_lo, s10
	v_add_co_u32 v16, vcc_lo, v16, -1
	v_add_co_ci_u32_e32 v17, vcc_lo, -1, v17, vcc_lo
	v_add_co_u32 v20, vcc_lo, v26, -1
	v_add_co_ci_u32_e32 v21, vcc_lo, -1, v27, vcc_lo
	s_delay_alu instid0(VALU_DEP_3) | instskip(SKIP_2) | instid1(VALU_DEP_4)
	v_cmp_eq_u64_e32 vcc_lo, 0, v[16:17]
	v_dual_mov_b32 v18, v26 :: v_dual_add_nc_u32 v25, -8, v25
	v_mov_b32_e32 v19, v27
	v_dual_mov_b32 v27, v21 :: v_dual_mov_b32 v26, v20
	v_mov_b32_e32 v43, v23
	s_or_b32 s1, vcc_lo, s1
	s_delay_alu instid0(SALU_CYCLE_1)
	s_and_not1_b32 exec_lo, exec_lo, s1
	s_cbranch_execz .LBB2_320
.LBB2_310:                              ;   Parent Loop BB2_179 Depth=1
                                        ; =>  This Inner Loop Header: Depth=2
	s_delay_alu instid0(VALU_DEP_2)
	v_lshl_add_u32 v45, v18, 3, v65
	s_mov_b32 s9, 0
	s_mov_b32 s10, exec_lo
                                        ; implicit-def: $sgpr11
                                        ; implicit-def: $vgpr23
                                        ; implicit-def: $vgpr19_vgpr20
                                        ; implicit-def: $vgpr44
	ds_load_b64 v[21:22], v45 offset:160
	s_waitcnt lgkmcnt(0)
	v_cmpx_nlt_f64_e32 v[21:22], v[34:35]
	s_xor_b32 s10, exec_lo, s10
	s_cbranch_execnz .LBB2_313
; %bb.311:                              ;   in Loop: Header=BB2_310 Depth=2
	s_or_saveexec_b32 s10, s10
	v_mov_b32_e32 v24, s11
	s_xor_b32 exec_lo, exec_lo, s10
	s_cbranch_execnz .LBB2_316
.LBB2_312:                              ;   in Loop: Header=BB2_310 Depth=2
	s_or_b32 exec_lo, exec_lo, s10
	s_and_saveexec_b32 s10, s9
	s_cbranch_execz .LBB2_309
	s_branch .LBB2_319
.LBB2_313:                              ;   in Loop: Header=BB2_310 Depth=2
	ds_load_b64 v[23:24], v25 offset:160
	s_mov_b32 s14, exec_lo
                                        ; implicit-def: $sgpr11
                                        ; implicit-def: $vgpr19_vgpr20
                                        ; implicit-def: $vgpr44
	s_waitcnt lgkmcnt(0)
	v_cmpx_lt_f64_e32 v[23:24], v[34:35]
	s_xor_b32 s14, exec_lo, s14
	s_cbranch_execz .LBB2_315
; %bb.314:                              ;   in Loop: Header=BB2_310 Depth=2
	v_add_f64 v[19:20], v[21:22], -v[23:24]
	v_add_f64 v[21:22], v[34:35], -v[23:24]
	s_mov_b32 s9, exec_lo
	s_mov_b32 s11, -1
	s_delay_alu instid0(VALU_DEP_1) | instskip(SKIP_1) | instid1(VALU_DEP_2)
	v_div_scale_f64 v[23:24], null, v[19:20], v[19:20], v[21:22]
	v_div_scale_f64 v[50:51], vcc_lo, v[21:22], v[19:20], v[21:22]
	v_rcp_f64_e32 v[46:47], v[23:24]
	s_waitcnt_depctr 0xfff
	v_fma_f64 v[48:49], -v[23:24], v[46:47], 1.0
	s_delay_alu instid0(VALU_DEP_1) | instskip(NEXT) | instid1(VALU_DEP_1)
	v_fma_f64 v[46:47], v[46:47], v[48:49], v[46:47]
	v_fma_f64 v[48:49], -v[23:24], v[46:47], 1.0
	s_delay_alu instid0(VALU_DEP_1) | instskip(NEXT) | instid1(VALU_DEP_1)
	v_fma_f64 v[46:47], v[46:47], v[48:49], v[46:47]
	v_mul_f64 v[48:49], v[50:51], v[46:47]
	s_delay_alu instid0(VALU_DEP_1) | instskip(NEXT) | instid1(VALU_DEP_1)
	v_fma_f64 v[23:24], -v[23:24], v[48:49], v[50:51]
	v_div_fmas_f64 v[23:24], v[23:24], v[46:47], v[48:49]
	v_lshl_add_u32 v48, v43, 3, v65
	ds_store_b64 v48, v[34:35] offset:160
	ds_load_b64 v[46:47], v25
	ds_load_b64 v[44:45], v45
	v_div_fixup_f64 v[19:20], v[23:24], v[19:20], v[21:22]
	s_waitcnt lgkmcnt(0)
	v_add_f64 v[21:22], v[44:45], -v[46:47]
	v_add_nc_u32_e32 v44, 0x50, v25
	s_delay_alu instid0(VALU_DEP_2)
	v_fma_f64 v[21:22], v[19:20], v[21:22], v[46:47]
	ds_store_b64 v48, v[21:22]
.LBB2_315:                              ;   in Loop: Header=BB2_310 Depth=2
	s_or_b32 exec_lo, exec_lo, s14
	v_mov_b32_e32 v23, v43
	s_and_b32 s9, s9, exec_lo
                                        ; implicit-def: $vgpr21_vgpr22
                                        ; implicit-def: $vgpr45
	s_or_saveexec_b32 s10, s10
	v_mov_b32_e32 v24, s11
	s_xor_b32 exec_lo, exec_lo, s10
	s_cbranch_execz .LBB2_312
.LBB2_316:                              ;   in Loop: Header=BB2_310 Depth=2
	v_lshl_add_u32 v24, v43, 3, v65
	v_add_nc_u32_e32 v23, -1, v43
	s_mov_b32 s14, s9
	s_mov_b32 s11, exec_lo
                                        ; implicit-def: $sgpr15
                                        ; implicit-def: $vgpr44
	ds_store_b64 v24, v[21:22] offset:160
	ds_load_b64 v[18:19], v45
	s_waitcnt lgkmcnt(0)
	ds_store_b64 v24, v[18:19]
	ds_load_b64 v[18:19], v45 offset:80
	s_waitcnt lgkmcnt(0)
	ds_store_b64 v24, v[18:19] offset:80
	ds_load_b64 v[21:22], v25 offset:160
                                        ; implicit-def: $vgpr19_vgpr20
                                        ; implicit-def: $vgpr18
	s_waitcnt lgkmcnt(0)
	v_cmpx_ge_f64_e32 v[21:22], v[34:35]
	s_cbranch_execz .LBB2_318
; %bb.317:                              ;   in Loop: Header=BB2_310 Depth=2
	ds_load_b64 v[18:19], v45 offset:160
	ds_store_b64 v24, v[34:35] offset:152
	v_add_nc_u32_e32 v44, 0x50, v45
	v_add_nc_u32_e32 v24, -8, v24
	s_mov_b32 s15, -2
	s_or_b32 s14, s9, exec_lo
	s_waitcnt lgkmcnt(1)
	v_add_f64 v[20:21], v[21:22], -v[18:19]
	v_add_f64 v[18:19], v[34:35], -v[18:19]
	s_delay_alu instid0(VALU_DEP_1) | instskip(SKIP_1) | instid1(VALU_DEP_2)
	v_div_scale_f64 v[46:47], null, v[20:21], v[20:21], v[18:19]
	v_div_scale_f64 v[52:53], vcc_lo, v[18:19], v[20:21], v[18:19]
	v_rcp_f64_e32 v[48:49], v[46:47]
	s_waitcnt_depctr 0xfff
	v_fma_f64 v[50:51], -v[46:47], v[48:49], 1.0
	s_delay_alu instid0(VALU_DEP_1) | instskip(NEXT) | instid1(VALU_DEP_1)
	v_fma_f64 v[48:49], v[48:49], v[50:51], v[48:49]
	v_fma_f64 v[50:51], -v[46:47], v[48:49], 1.0
	s_delay_alu instid0(VALU_DEP_1) | instskip(NEXT) | instid1(VALU_DEP_1)
	v_fma_f64 v[48:49], v[48:49], v[50:51], v[48:49]
	v_mul_f64 v[50:51], v[52:53], v[48:49]
	s_delay_alu instid0(VALU_DEP_1) | instskip(NEXT) | instid1(VALU_DEP_1)
	v_fma_f64 v[46:47], -v[46:47], v[50:51], v[52:53]
	v_div_fmas_f64 v[46:47], v[46:47], v[48:49], v[50:51]
	ds_load_b64 v[48:49], v45
	ds_load_b64 v[50:51], v25
	v_div_fixup_f64 v[19:20], v[46:47], v[20:21], v[18:19]
	s_waitcnt lgkmcnt(0)
	v_add_f64 v[21:22], v[50:51], -v[48:49]
	v_mov_b32_e32 v18, v26
	s_delay_alu instid0(VALU_DEP_2)
	v_fma_f64 v[21:22], v[19:20], v[21:22], v[48:49]
	ds_store_b64 v24, v[21:22]
.LBB2_318:                              ;   in Loop: Header=BB2_310 Depth=2
	s_or_b32 exec_lo, exec_lo, s11
	v_mov_b32_e32 v24, s15
	s_and_not1_b32 s9, s9, exec_lo
	s_and_b32 s11, s14, exec_lo
	s_delay_alu instid0(SALU_CYCLE_1)
	s_or_b32 s9, s9, s11
	s_or_b32 exec_lo, exec_lo, s10
	s_and_saveexec_b32 s10, s9
	s_cbranch_execz .LBB2_309
.LBB2_319:                              ;   in Loop: Header=BB2_310 Depth=2
	v_lshl_add_u32 v18, v18, 3, v66
	ds_load_b64 v[21:22], v44
	ds_load_b64 v[44:45], v18
	s_waitcnt lgkmcnt(0)
	v_add_f64 v[44:45], v[44:45], -v[21:22]
	s_delay_alu instid0(VALU_DEP_1)
	v_fma_f64 v[18:19], v[19:20], v[44:45], v[21:22]
	v_lshl_add_u32 v20, v23, 3, v66
	v_add_nc_u32_e32 v23, v24, v43
	ds_store_b64 v20, v[18:19]
	s_branch .LBB2_309
.LBB2_320:                              ;   in Loop: Header=BB2_179 Depth=1
	s_or_b32 exec_lo, exec_lo, s1
	v_add_nc_u32_e32 v17, -9, v23
.LBB2_321:                              ;   in Loop: Header=BB2_179 Depth=1
	s_or_b32 exec_lo, exec_lo, s0
	v_mov_b32_e32 v45, 0
	s_mov_b32 s1, 0
	s_mov_b32 s0, exec_lo
	v_cmpx_ne_u32_e32 0, v17
	s_cbranch_execz .LBB2_335
; %bb.322:                              ;   in Loop: Header=BB2_179 Depth=1
	v_add_nc_u32_e32 v16, 10, v17
	v_dual_mov_b32 v20, 9 :: v_dual_mov_b32 v45, 0
	v_lshl_add_u32 v27, v17, 3, v66
	v_mov_b32_e32 v21, 0
	s_delay_alu instid0(VALU_DEP_4) | instskip(SKIP_1) | instid1(VALU_DEP_2)
	v_ashrrev_i32_e32 v17, 31, v16
	v_add_co_u32 v18, vcc_lo, v16, -10
	v_add_co_ci_u32_e32 v19, vcc_lo, -1, v17, vcc_lo
	s_branch .LBB2_324
.LBB2_323:                              ;   in Loop: Header=BB2_324 Depth=2
	s_or_b32 exec_lo, exec_lo, s10
	v_add_co_u32 v18, vcc_lo, v18, 1
	v_add_co_ci_u32_e32 v19, vcc_lo, 0, v19, vcc_lo
	v_add_co_u32 v22, vcc_lo, v16, 1
	v_add_co_ci_u32_e32 v23, vcc_lo, 0, v17, vcc_lo
	s_delay_alu instid0(VALU_DEP_3) | instskip(SKIP_2) | instid1(VALU_DEP_4)
	v_cmp_eq_u64_e32 vcc_lo, 0, v[18:19]
	v_mov_b32_e32 v21, v17
	v_dual_mov_b32 v20, v16 :: v_dual_add_nc_u32 v27, 8, v27
	v_dual_mov_b32 v16, v22 :: v_dual_mov_b32 v17, v23
	s_or_b32 s1, vcc_lo, s1
	s_delay_alu instid0(SALU_CYCLE_1)
	s_and_not1_b32 exec_lo, exec_lo, s1
	s_cbranch_execz .LBB2_334
.LBB2_324:                              ;   Parent Loop BB2_179 Depth=1
                                        ; =>  This Inner Loop Header: Depth=2
	v_lshl_add_u32 v44, v20, 3, v65
	s_mov_b32 s9, 0
	s_mov_b32 s10, exec_lo
                                        ; implicit-def: $vgpr25
                                        ; implicit-def: $vgpr21_vgpr22
                                        ; implicit-def: $vgpr43
	ds_load_b64 v[23:24], v44 offset:160
	s_waitcnt lgkmcnt(0)
	v_cmpx_le_f64_e32 0, v[23:24]
	s_xor_b32 s10, exec_lo, s10
	s_cbranch_execnz .LBB2_327
; %bb.325:                              ;   in Loop: Header=BB2_324 Depth=2
	s_and_not1_saveexec_b32 s10, s10
	s_cbranch_execnz .LBB2_330
.LBB2_326:                              ;   in Loop: Header=BB2_324 Depth=2
	s_or_b32 exec_lo, exec_lo, s10
	s_and_saveexec_b32 s10, s9
	s_cbranch_execz .LBB2_323
	s_branch .LBB2_333
.LBB2_327:                              ;   in Loop: Header=BB2_324 Depth=2
	v_lshl_add_u32 v26, v45, 3, v65
	v_add_nc_u32_e32 v25, 1, v45
	s_mov_b32 s11, exec_lo
                                        ; implicit-def: $vgpr43
	ds_store_b64 v26, v[23:24] offset:160
	ds_load_b64 v[20:21], v44
	s_waitcnt lgkmcnt(0)
	ds_store_b64 v26, v[20:21]
	ds_load_b64 v[20:21], v44 offset:80
	s_waitcnt lgkmcnt(0)
	ds_store_b64 v26, v[20:21] offset:80
	ds_load_b64 v[23:24], v27 offset:160
                                        ; implicit-def: $vgpr21_vgpr22
                                        ; implicit-def: $vgpr20
	s_waitcnt lgkmcnt(0)
	v_cmpx_gt_f64_e32 0, v[23:24]
	s_cbranch_execz .LBB2_329
; %bb.328:                              ;   in Loop: Header=BB2_324 Depth=2
	ds_load_b64 v[20:21], v44 offset:160
	v_add_f64 v[46:47], -v[23:24], 0
	v_mov_b32_e32 v43, v42
	s_mov_b32 s9, exec_lo
	s_waitcnt lgkmcnt(0)
	v_add_f64 v[20:21], v[20:21], -v[23:24]
	v_lshl_add_u32 v24, v45, 3, v69
	s_delay_alu instid0(VALU_DEP_2) | instskip(SKIP_1) | instid1(VALU_DEP_2)
	v_div_scale_f64 v[22:23], null, v[20:21], v[20:21], v[46:47]
	v_div_scale_f64 v[52:53], vcc_lo, v[46:47], v[20:21], v[46:47]
	v_rcp_f64_e32 v[48:49], v[22:23]
	s_waitcnt_depctr 0xfff
	v_fma_f64 v[50:51], -v[22:23], v[48:49], 1.0
	s_delay_alu instid0(VALU_DEP_1) | instskip(NEXT) | instid1(VALU_DEP_1)
	v_fma_f64 v[48:49], v[48:49], v[50:51], v[48:49]
	v_fma_f64 v[50:51], -v[22:23], v[48:49], 1.0
	s_delay_alu instid0(VALU_DEP_1) | instskip(NEXT) | instid1(VALU_DEP_1)
	v_fma_f64 v[48:49], v[48:49], v[50:51], v[48:49]
	v_mul_f64 v[50:51], v[52:53], v[48:49]
	s_delay_alu instid0(VALU_DEP_1) | instskip(NEXT) | instid1(VALU_DEP_1)
	v_fma_f64 v[22:23], -v[22:23], v[50:51], v[52:53]
	v_div_fmas_f64 v[22:23], v[22:23], v[48:49], v[50:51]
	s_delay_alu instid0(VALU_DEP_1)
	v_div_fixup_f64 v[21:22], v[22:23], v[20:21], v[46:47]
	v_mov_b32_e32 v20, v16
	ds_store_b64 v24, v[42:43]
	ds_load_b64 v[48:49], v27
	ds_load_b64 v[50:51], v44
	v_add_nc_u32_e32 v43, 0x50, v44
	s_waitcnt lgkmcnt(0)
	v_add_f64 v[23:24], v[50:51], -v[48:49]
	s_delay_alu instid0(VALU_DEP_1)
	v_fma_f64 v[23:24], v[21:22], v[23:24], v[48:49]
	ds_store_b64 v26, v[23:24] offset:8
.LBB2_329:                              ;   in Loop: Header=BB2_324 Depth=2
	s_or_b32 exec_lo, exec_lo, s11
	v_mov_b32_e32 v45, v25
	s_and_b32 s9, s9, exec_lo
                                        ; implicit-def: $vgpr23_vgpr24
                                        ; implicit-def: $vgpr44
	s_and_not1_saveexec_b32 s10, s10
	s_cbranch_execz .LBB2_326
.LBB2_330:                              ;   in Loop: Header=BB2_324 Depth=2
	ds_load_b64 v[25:26], v27 offset:160
	s_mov_b32 s14, s9
	s_mov_b32 s11, exec_lo
                                        ; implicit-def: $vgpr21_vgpr22
                                        ; implicit-def: $vgpr43
	s_waitcnt lgkmcnt(0)
	v_cmpx_le_f64_e32 0, v[25:26]
	s_cbranch_execz .LBB2_332
; %bb.331:                              ;   in Loop: Header=BB2_324 Depth=2
	v_add_f64 v[21:22], v[25:26], -v[23:24]
	v_add_f64 v[23:24], -v[23:24], 0
	v_mov_b32_e32 v43, v42
	s_or_b32 s14, s9, exec_lo
	s_delay_alu instid0(VALU_DEP_2) | instskip(SKIP_1) | instid1(VALU_DEP_2)
	v_div_scale_f64 v[25:26], null, v[21:22], v[21:22], v[23:24]
	v_div_scale_f64 v[50:51], vcc_lo, v[23:24], v[21:22], v[23:24]
	v_rcp_f64_e32 v[46:47], v[25:26]
	s_waitcnt_depctr 0xfff
	v_fma_f64 v[48:49], -v[25:26], v[46:47], 1.0
	s_delay_alu instid0(VALU_DEP_1) | instskip(NEXT) | instid1(VALU_DEP_1)
	v_fma_f64 v[46:47], v[46:47], v[48:49], v[46:47]
	v_fma_f64 v[48:49], -v[25:26], v[46:47], 1.0
	s_delay_alu instid0(VALU_DEP_1) | instskip(NEXT) | instid1(VALU_DEP_1)
	v_fma_f64 v[46:47], v[46:47], v[48:49], v[46:47]
	v_mul_f64 v[48:49], v[50:51], v[46:47]
	s_delay_alu instid0(VALU_DEP_1) | instskip(NEXT) | instid1(VALU_DEP_1)
	v_fma_f64 v[25:26], -v[25:26], v[48:49], v[50:51]
	v_div_fmas_f64 v[25:26], v[25:26], v[46:47], v[48:49]
	v_lshl_add_u32 v48, v45, 3, v65
	ds_store_b64 v48, v[42:43] offset:160
	ds_load_b64 v[43:44], v44
	ds_load_b64 v[46:47], v27
	v_div_fixup_f64 v[21:22], v[25:26], v[21:22], v[23:24]
	s_waitcnt lgkmcnt(0)
	v_add_f64 v[23:24], v[46:47], -v[43:44]
	s_delay_alu instid0(VALU_DEP_1)
	v_fma_f64 v[23:24], v[21:22], v[23:24], v[43:44]
	v_add_nc_u32_e32 v43, 0x50, v27
	ds_store_b64 v48, v[23:24]
.LBB2_332:                              ;   in Loop: Header=BB2_324 Depth=2
	s_or_b32 exec_lo, exec_lo, s11
	v_mov_b32_e32 v25, v45
	s_and_not1_b32 s9, s9, exec_lo
	s_and_b32 s11, s14, exec_lo
	s_delay_alu instid0(SALU_CYCLE_1)
	s_or_b32 s9, s9, s11
	s_or_b32 exec_lo, exec_lo, s10
	s_and_saveexec_b32 s10, s9
	s_cbranch_execz .LBB2_323
.LBB2_333:                              ;   in Loop: Header=BB2_324 Depth=2
	v_lshl_add_u32 v20, v20, 3, v66
	v_add_nc_u32_e32 v45, 1, v25
	ds_load_b64 v[23:24], v20
	ds_load_b64 v[43:44], v43
	s_waitcnt lgkmcnt(0)
	v_add_f64 v[43:44], v[43:44], -v[23:24]
	s_delay_alu instid0(VALU_DEP_1)
	v_fma_f64 v[20:21], v[21:22], v[43:44], v[23:24]
	v_lshl_add_u32 v22, v25, 3, v66
	ds_store_b64 v22, v[20:21]
	s_branch .LBB2_323
.LBB2_334:                              ;   in Loop: Header=BB2_179 Depth=1
	s_or_b32 exec_lo, exec_lo, s1
.LBB2_335:                              ;   in Loop: Header=BB2_179 Depth=1
	s_delay_alu instid0(SALU_CYCLE_1) | instskip(NEXT) | instid1(SALU_CYCLE_1)
	s_or_b32 exec_lo, exec_lo, s0
	s_mov_b32 s0, exec_lo
	v_cmpx_lt_i32_e32 2, v45
	s_cbranch_execz .LBB2_178
; %bb.336:                              ;   in Loop: Header=BB2_179 Depth=1
	ds_load_2addr_b64 v[16:19], v65 offset1:1
	ds_load_2addr_b64 v[20:23], v65 offset0:10 offset1:11
	ds_load_2addr_b64 v[24:27], v65 offset0:20 offset1:21
	v_mov_b32_e32 v43, 0
	v_dual_mov_b32 v44, 0 :: v_dual_mov_b32 v53, v77
	v_add_co_u32 v45, s1, v45, -2
	s_delay_alu instid0(VALU_DEP_1) | instskip(NEXT) | instid1(VALU_DEP_3)
	v_add_co_ci_u32_e64 v46, null, 0, -1, s1
	v_dual_mov_b32 v48, v44 :: v_dual_mov_b32 v47, v43
	v_dual_mov_b32 v50, v44 :: v_dual_mov_b32 v49, v43
	;; [unrolled: 1-line block ×3, first 2 shown]
	s_mov_b32 s1, 0
.LBB2_337:                              ;   Parent Loop BB2_179 Depth=1
                                        ; =>  This Inner Loop Header: Depth=2
	ds_load_2addr_b64 v[79:82], v53 offset1:10
	s_waitcnt lgkmcnt(1)
	v_add_f64 v[54:55], v[24:25], v[26:27]
	ds_load_b64 v[87:88], v53 offset:160
	v_add_f64 v[89:90], v[16:17], v[18:19]
	v_add_f64 v[91:92], v[16:17], -v[18:19]
	v_add_co_u32 v45, vcc_lo, v45, -1
	v_add_co_ci_u32_e32 v46, vcc_lo, -1, v46, vcc_lo
	v_add_nc_u32_e32 v53, 8, v53
	s_delay_alu instid0(VALU_DEP_2)
	v_cmp_eq_u64_e32 vcc_lo, 0, v[45:46]
	s_or_b32 s1, vcc_lo, s1
	s_waitcnt lgkmcnt(1)
	v_add_f64 v[83:84], v[22:23], v[81:82]
	v_add_f64 v[85:86], v[18:19], -v[79:80]
	v_add_f64 v[22:23], v[20:21], v[22:23]
	s_waitcnt lgkmcnt(0)
	v_add_f64 v[26:27], v[26:27], v[87:88]
	v_add_f64 v[18:19], v[18:19], v[79:80]
	;; [unrolled: 1-line block ×4, first 2 shown]
	v_add_f64 v[99:100], v[79:80], -v[16:17]
	v_mul_f64 v[93:94], v[54:55], 0.5
	v_fma_f64 v[54:55], v[54:55], 0.5, 0
	v_fma_f64 v[89:90], v[36:37], v[89:90], v[0:1]
	v_mul_f64 v[85:86], v[85:86], v[83:84]
	v_fma_f64 v[101:102], v[38:39], v[22:23], v[4:5]
	v_mul_f64 v[103:104], v[26:27], 0.5
	v_fma_f64 v[18:19], v[36:37], v[18:19], v[0:1]
	v_fma_f64 v[83:84], v[38:39], v[83:84], v[4:5]
	v_fma_f64 v[105:106], v[93:94], 0.5, v[6:7]
	v_fma_f64 v[26:27], v[26:27], 0.5, v[54:55]
	v_fma_f64 v[89:90], v[89:90], v[93:94], 0
	v_fma_f64 v[22:23], v[91:92], v[22:23], v[85:86]
	v_add_f64 v[85:86], v[16:17], v[79:80]
	v_mul_f64 v[91:92], v[95:96], 0.5
	v_fma_f64 v[101:102], v[93:94], v[101:102], 0
	v_fma_f64 v[107:108], v[103:104], 0.5, v[6:7]
	v_fma_f64 v[93:94], v[93:94], v[105:106], 0
	v_fma_f64 v[26:27], v[95:96], 0.5, v[26:27]
	v_fma_f64 v[18:19], v[18:19], v[103:104], v[89:90]
	v_fma_f64 v[22:23], v[99:100], v[97:98], v[22:23]
	;; [unrolled: 1-line block ×4, first 2 shown]
	v_fma_f64 v[54:55], v[91:92], 0.5, v[6:7]
	v_fma_f64 v[83:84], v[103:104], v[83:84], v[101:102]
	v_fma_f64 v[89:90], v[103:104], v[107:108], v[93:94]
	v_mul_f64 v[22:23], v[22:23], 0.5
	v_fma_f64 v[18:19], v[85:86], v[91:92], v[18:19]
	s_delay_alu instid0(VALU_DEP_4) | instskip(NEXT) | instid1(VALU_DEP_4)
	v_fma_f64 v[83:84], v[91:92], v[97:98], v[83:84]
	v_fma_f64 v[54:55], v[91:92], v[54:55], v[89:90]
	s_delay_alu instid0(VALU_DEP_4) | instskip(NEXT) | instid1(VALU_DEP_1)
	v_mul_f64 v[22:23], v[22:23], s[4:5]
	v_fma_f64 v[43:44], v[26:27], v[22:23], v[43:44]
	v_fma_f64 v[47:48], v[22:23], v[18:19], v[47:48]
	v_mov_b32_e32 v18, v79
	v_fma_f64 v[49:50], v[22:23], v[83:84], v[49:50]
	v_fma_f64 v[51:52], v[22:23], v[54:55], v[51:52]
	v_dual_mov_b32 v19, v80 :: v_dual_mov_b32 v22, v81
	v_dual_mov_b32 v23, v82 :: v_dual_mov_b32 v26, v87
	v_mov_b32_e32 v27, v88
	s_and_not1_b32 exec_lo, exec_lo, s1
	s_cbranch_execnz .LBB2_337
; %bb.338:                              ;   in Loop: Header=BB2_179 Depth=1
	s_or_b32 exec_lo, exec_lo, s1
	v_fma_f64 v[12:13], v[2:3], v[43:44], v[12:13]
	v_fma_f64 v[14:15], v[2:3], v[47:48], v[14:15]
	;; [unrolled: 1-line block ×4, first 2 shown]
	s_branch .LBB2_178
.LBB2_339:
	s_or_b32 exec_lo, exec_lo, s7
.LBB2_340:
	s_delay_alu instid0(SALU_CYCLE_1) | instskip(SKIP_3) | instid1(VALU_DEP_1)
	s_or_b32 exec_lo, exec_lo, s6
	scratch_load_b32 v17, off, off offset:4
	s_waitcnt vmcnt(0)
	v_and_b32_e32 v16, 1, v17
	v_cmp_eq_u32_e32 vcc_lo, 1, v16
	v_mov_b32_e32 v16, 0
	s_and_saveexec_b32 s0, vcc_lo
	s_cbranch_execz .LBB2_342
; %bb.341:
	v_mov_b32_e32 v18, 0
	v_mov_b32_e32 v16, 1
	scratch_store_b8 off, v18, off offset:16
.LBB2_342:
	s_or_b32 exec_lo, exec_lo, s0
	v_and_b32_e32 v18, 2, v17
	s_mov_b32 s0, exec_lo
	s_delay_alu instid0(VALU_DEP_1)
	v_cmpx_ne_u32_e32 0, v18
	s_cbranch_execz .LBB2_344
; %bb.343:
	v_add_nc_u32_e32 v18, 1, v16
	v_or_b32_e32 v19, 16, v16
	v_mov_b32_e32 v20, 1
	s_delay_alu instid0(VALU_DEP_3)
	v_mov_b32_e32 v16, v18
	scratch_store_b8 v19, v20, off
.LBB2_344:
	s_or_b32 exec_lo, exec_lo, s0
	v_and_b32_e32 v18, 4, v17
	s_mov_b32 s0, exec_lo
	s_delay_alu instid0(VALU_DEP_1)
	v_cmpx_ne_u32_e32 0, v18
	s_cbranch_execz .LBB2_346
; %bb.345:
	v_or_b32_e32 v18, 16, v16
	v_dual_mov_b32 v19, 2 :: v_dual_add_nc_u32 v16, 1, v16
	scratch_store_b8 v18, v19, off
.LBB2_346:
	s_or_b32 exec_lo, exec_lo, s0
	v_and_b32_e32 v18, 8, v17
	s_mov_b32 s0, exec_lo
	s_delay_alu instid0(VALU_DEP_1)
	v_cmpx_ne_u32_e32 0, v18
	s_cbranch_execz .LBB2_348
; %bb.347:
	v_or_b32_e32 v18, 16, v16
	v_dual_mov_b32 v19, 3 :: v_dual_add_nc_u32 v16, 1, v16
	scratch_store_b8 v18, v19, off
.LBB2_348:
	;; [unrolled: 11-line block ×3, first 2 shown]
	s_or_b32 exec_lo, exec_lo, s0
	v_and_b32_e32 v18, 32, v17
	s_mov_b32 s0, exec_lo
	s_delay_alu instid0(VALU_DEP_1)
	v_cmpx_ne_u32_e32 0, v18
	s_cbranch_execz .LBB2_352
; %bb.351:
	v_dual_mov_b32 v18, 5 :: v_dual_add_nc_u32 v19, 1, v16
	scratch_store_b8 v16, v18, off offset:16
	v_mov_b32_e32 v16, v19
.LBB2_352:
	s_or_b32 exec_lo, exec_lo, s0
	v_and_b32_e32 v18, 64, v17
	s_mov_b32 s0, exec_lo
	s_delay_alu instid0(VALU_DEP_1)
	v_cmpx_ne_u32_e32 0, v18
	s_cbranch_execz .LBB2_354
; %bb.353:
	v_dual_mov_b32 v18, 6 :: v_dual_add_nc_u32 v19, 1, v16
	scratch_store_b8 v16, v18, off offset:16
	v_mov_b32_e32 v16, v19
.LBB2_354:
	s_or_b32 exec_lo, exec_lo, s0
	v_and_b32_e32 v18, 0x80, v17
	s_mov_b32 s0, exec_lo
	s_delay_alu instid0(VALU_DEP_1)
	v_cmpx_ne_u32_e32 0, v18
	s_cbranch_execz .LBB2_356
; %bb.355:
	v_dual_mov_b32 v18, 7 :: v_dual_add_nc_u32 v19, 1, v16
	scratch_store_b8 v16, v18, off offset:16
	v_mov_b32_e32 v16, v19
.LBB2_356:
	s_or_b32 exec_lo, exec_lo, s0
	v_and_b32_e32 v18, 0x100, v17
	s_mov_b32 s0, exec_lo
	s_delay_alu instid0(VALU_DEP_1)
	v_cmpx_ne_u32_e32 0, v18
	s_cbranch_execz .LBB2_358
; %bb.357:
	v_dual_mov_b32 v18, 8 :: v_dual_add_nc_u32 v19, 1, v16
	scratch_store_b8 v16, v18, off offset:16
	v_mov_b32_e32 v16, v19
.LBB2_358:
	s_or_b32 exec_lo, exec_lo, s0
	v_and_b32_e32 v18, 0x200, v17
	s_mov_b32 s0, exec_lo
	s_delay_alu instid0(VALU_DEP_1)
	v_cmpx_ne_u32_e32 0, v18
	s_cbranch_execz .LBB2_360
; %bb.359:
	v_dual_mov_b32 v18, 9 :: v_dual_add_nc_u32 v19, 1, v16
	scratch_store_b8 v16, v18, off offset:16
	v_mov_b32_e32 v16, v19
.LBB2_360:
	s_or_b32 exec_lo, exec_lo, s0
	v_and_b32_e32 v18, 0x400, v17
	s_mov_b32 s0, exec_lo
	s_delay_alu instid0(VALU_DEP_1)
	v_cmpx_ne_u32_e32 0, v18
	s_cbranch_execz .LBB2_362
; %bb.361:
	v_dual_mov_b32 v18, 10 :: v_dual_add_nc_u32 v19, 1, v16
	scratch_store_b8 v16, v18, off offset:16
	v_mov_b32_e32 v16, v19
.LBB2_362:
	s_or_b32 exec_lo, exec_lo, s0
	v_and_b32_e32 v18, 0x800, v17
	s_mov_b32 s0, exec_lo
	s_delay_alu instid0(VALU_DEP_1)
	v_cmpx_ne_u32_e32 0, v18
	s_cbranch_execz .LBB2_364
; %bb.363:
	v_dual_mov_b32 v18, 11 :: v_dual_add_nc_u32 v19, 1, v16
	scratch_store_b8 v16, v18, off offset:16
	v_mov_b32_e32 v16, v19
.LBB2_364:
	s_or_b32 exec_lo, exec_lo, s0
	v_and_b32_e32 v18, 0x1000, v17
	s_mov_b32 s0, exec_lo
	s_delay_alu instid0(VALU_DEP_1)
	v_cmpx_ne_u32_e32 0, v18
	s_cbranch_execz .LBB2_366
; %bb.365:
	v_dual_mov_b32 v18, 12 :: v_dual_add_nc_u32 v19, 1, v16
	scratch_store_b8 v16, v18, off offset:16
	v_mov_b32_e32 v16, v19
.LBB2_366:
	s_or_b32 exec_lo, exec_lo, s0
	v_and_b32_e32 v18, 0x2000, v17
	s_mov_b32 s0, exec_lo
	s_delay_alu instid0(VALU_DEP_1)
	v_cmpx_ne_u32_e32 0, v18
	s_cbranch_execz .LBB2_368
; %bb.367:
	v_dual_mov_b32 v18, 13 :: v_dual_add_nc_u32 v19, 1, v16
	scratch_store_b8 v16, v18, off offset:16
	v_mov_b32_e32 v16, v19
.LBB2_368:
	s_or_b32 exec_lo, exec_lo, s0
	v_and_b32_e32 v18, 0x4000, v17
	s_mov_b32 s0, exec_lo
	s_delay_alu instid0(VALU_DEP_1)
	v_cmpx_ne_u32_e32 0, v18
	s_cbranch_execz .LBB2_370
; %bb.369:
	v_dual_mov_b32 v18, 14 :: v_dual_add_nc_u32 v19, 1, v16
	scratch_store_b8 v16, v18, off offset:16
	v_mov_b32_e32 v16, v19
.LBB2_370:
	s_or_b32 exec_lo, exec_lo, s0
	v_and_b32_e32 v18, 0x8000, v17
	s_mov_b32 s0, exec_lo
	s_delay_alu instid0(VALU_DEP_1)
	v_cmpx_ne_u32_e32 0, v18
	s_cbranch_execz .LBB2_372
; %bb.371:
	v_dual_mov_b32 v18, 15 :: v_dual_add_nc_u32 v19, 1, v16
	scratch_store_b8 v16, v18, off offset:16
	v_mov_b32_e32 v16, v19
.LBB2_372:
	s_or_b32 exec_lo, exec_lo, s0
	v_and_b32_e32 v18, 0x10000, v17
	s_mov_b32 s0, exec_lo
	s_delay_alu instid0(VALU_DEP_1)
	v_cmpx_ne_u32_e32 0, v18
	s_cbranch_execz .LBB2_374
; %bb.373:
	v_dual_mov_b32 v18, 16 :: v_dual_add_nc_u32 v19, 1, v16
	scratch_store_b8 v16, v18, off offset:16
	v_mov_b32_e32 v16, v19
.LBB2_374:
	s_or_b32 exec_lo, exec_lo, s0
	v_and_b32_e32 v18, 0x20000, v17
	s_mov_b32 s0, exec_lo
	s_delay_alu instid0(VALU_DEP_1)
	v_cmpx_ne_u32_e32 0, v18
	s_cbranch_execz .LBB2_376
; %bb.375:
	v_dual_mov_b32 v18, 17 :: v_dual_add_nc_u32 v19, 1, v16
	scratch_store_b8 v16, v18, off offset:16
	v_mov_b32_e32 v16, v19
.LBB2_376:
	s_or_b32 exec_lo, exec_lo, s0
	v_and_b32_e32 v18, 0x40000, v17
	s_mov_b32 s0, exec_lo
	s_delay_alu instid0(VALU_DEP_1)
	v_cmpx_ne_u32_e32 0, v18
	s_cbranch_execz .LBB2_378
; %bb.377:
	v_dual_mov_b32 v18, 18 :: v_dual_add_nc_u32 v19, 1, v16
	scratch_store_b8 v16, v18, off offset:16
	v_mov_b32_e32 v16, v19
.LBB2_378:
	s_or_b32 exec_lo, exec_lo, s0
	v_and_b32_e32 v18, 0x80000, v17
	s_mov_b32 s0, exec_lo
	s_delay_alu instid0(VALU_DEP_1)
	v_cmpx_ne_u32_e32 0, v18
	s_cbranch_execz .LBB2_380
; %bb.379:
	v_dual_mov_b32 v18, 19 :: v_dual_add_nc_u32 v19, 1, v16
	scratch_store_b8 v16, v18, off offset:16
	v_mov_b32_e32 v16, v19
.LBB2_380:
	s_or_b32 exec_lo, exec_lo, s0
	v_and_b32_e32 v18, 0x100000, v17
	s_mov_b32 s0, exec_lo
	s_delay_alu instid0(VALU_DEP_1)
	v_cmpx_ne_u32_e32 0, v18
	s_cbranch_execz .LBB2_382
; %bb.381:
	v_dual_mov_b32 v18, 20 :: v_dual_add_nc_u32 v19, 1, v16
	scratch_store_b8 v16, v18, off offset:16
	v_mov_b32_e32 v16, v19
.LBB2_382:
	s_or_b32 exec_lo, exec_lo, s0
	v_and_b32_e32 v18, 0x200000, v17
	s_mov_b32 s0, exec_lo
	s_delay_alu instid0(VALU_DEP_1)
	v_cmpx_ne_u32_e32 0, v18
	s_cbranch_execz .LBB2_384
; %bb.383:
	v_dual_mov_b32 v18, 21 :: v_dual_add_nc_u32 v19, 1, v16
	scratch_store_b8 v16, v18, off offset:16
	v_mov_b32_e32 v16, v19
.LBB2_384:
	s_or_b32 exec_lo, exec_lo, s0
	v_and_b32_e32 v18, 0x400000, v17
	s_mov_b32 s0, exec_lo
	s_delay_alu instid0(VALU_DEP_1)
	v_cmpx_ne_u32_e32 0, v18
	s_cbranch_execz .LBB2_386
; %bb.385:
	v_dual_mov_b32 v18, 22 :: v_dual_add_nc_u32 v19, 1, v16
	scratch_store_b8 v16, v18, off offset:16
	v_mov_b32_e32 v16, v19
.LBB2_386:
	s_or_b32 exec_lo, exec_lo, s0
	v_and_b32_e32 v17, 0x800000, v17
	s_mov_b32 s0, exec_lo
	s_delay_alu instid0(VALU_DEP_1)
	v_cmpx_ne_u32_e32 0, v17
	s_cbranch_execz .LBB2_388
; %bb.387:
	v_dual_mov_b32 v17, 23 :: v_dual_add_nc_u32 v18, 1, v16
	scratch_store_b8 v16, v17, off offset:16
	v_mov_b32_e32 v16, v18
.LBB2_388:
	s_or_b32 exec_lo, exec_lo, s0
	s_mov_b32 s3, 0
	s_mov_b32 s2, exec_lo
	s_delay_alu instid0(VALU_DEP_1)
	v_cmpx_ne_u32_e32 0, v16
	s_cbranch_execz .LBB2_420
; %bb.389:
	v_add_f64 v[20:21], v[34:35], v[34:35]
	v_dual_mov_b32 v17, 0 :: v_dual_mov_b32 v52, 16
	s_mov_b32 s0, 0x55555555
	s_mov_b32 s1, 0x3fd55555
	s_delay_alu instid0(VALU_DEP_2) | instskip(SKIP_1) | instid1(VALU_DEP_2)
	v_mul_f64 v[18:19], v[20:21], 0.5
	v_fma_f64 v[24:25], v[20:21], 0.5, 0
	v_fma_f64 v[22:23], v[18:19], 0.5, v[6:7]
	s_delay_alu instid0(VALU_DEP_2) | instskip(NEXT) | instid1(VALU_DEP_2)
	v_fma_f64 v[24:25], v[20:21], 0.5, v[24:25]
	v_fma_f64 v[26:27], v[18:19], v[22:23], 0
	s_delay_alu instid0(VALU_DEP_2) | instskip(NEXT) | instid1(VALU_DEP_2)
	v_fma_f64 v[20:21], v[20:21], 0.5, v[24:25]
	v_fma_f64 v[26:27], v[18:19], v[22:23], v[26:27]
	s_delay_alu instid0(VALU_DEP_1)
	v_fma_f64 v[22:23], v[18:19], v[22:23], v[26:27]
	s_branch .LBB2_392
.LBB2_390:                              ;   in Loop: Header=BB2_392 Depth=1
	s_or_b32 exec_lo, exec_lo, s5
	s_delay_alu instid0(VALU_DEP_1)
	v_dual_mov_b32 v54, v53 :: v_dual_mov_b32 v53, v66
.LBB2_391:                              ;   in Loop: Header=BB2_392 Depth=1
	s_or_b32 exec_lo, exec_lo, s4
	s_delay_alu instid0(VALU_DEP_1) | instskip(NEXT) | instid1(VALU_DEP_2)
	v_lshl_add_u32 v53, v53, 3, 0xf0
	v_lshl_add_u32 v68, v54, 3, 0xf0
	s_waitcnt vmcnt(6)
	v_add_f64 v[24:25], v[24:25], v[40:41]
	s_waitcnt vmcnt(2)
	v_add_f64 v[40:41], v[46:47], v[50:51]
	v_add_co_u32 v16, vcc_lo, v16, -1
	v_add_nc_u32_e32 v55, 64, v53
	v_add_nc_u32_e32 v66, 64, v68
	v_add_co_ci_u32_e32 v17, vcc_lo, -1, v17, vcc_lo
	v_add_nc_u32_e32 v52, 1, v52
	s_clause 0x3
	scratch_load_b64 v[55:56], v55, off
	scratch_load_b64 v[53:54], v53, off
	;; [unrolled: 1-line block ×4, first 2 shown]
	v_cmp_eq_u64_e32 vcc_lo, 0, v[16:17]
	s_or_b32 s3, vcc_lo, s3
	v_add_f64 v[24:25], v[24:25], v[26:27]
	s_waitcnt vmcnt(5)
	v_add_f64 v[26:27], v[40:41], v[48:49]
	s_delay_alu instid0(VALU_DEP_2) | instskip(SKIP_1) | instid1(VALU_DEP_2)
	v_add_f64 v[24:25], v[24:25], v[42:43]
	s_waitcnt vmcnt(4)
	v_add_f64 v[26:27], v[26:27], v[44:45]
	s_delay_alu instid0(VALU_DEP_2) | instskip(NEXT) | instid1(VALU_DEP_2)
	v_fma_f64 v[24:25], 0x3fd00000, v[24:25], -v[0:1]
	v_fma_f64 v[26:27], 0x3fd00000, v[26:27], -v[4:5]
	s_delay_alu instid0(VALU_DEP_2)
	v_mul_f64 v[24:25], v[32:33], v[24:25]
	s_waitcnt vmcnt(2)
	v_add_f64 v[42:43], v[53:54], -v[0:1]
	v_add_f64 v[40:41], v[55:56], -v[4:5]
	s_waitcnt vmcnt(1)
	v_add_f64 v[44:45], v[66:67], -v[4:5]
	s_waitcnt vmcnt(0)
	v_add_f64 v[46:47], v[68:69], -v[0:1]
	s_delay_alu instid0(VALU_DEP_4) | instskip(NEXT) | instid1(VALU_DEP_4)
	v_fma_f64 v[48:49], -v[32:33], v[42:43], v[24:25]
	v_mul_f64 v[40:41], v[30:31], v[40:41]
	s_delay_alu instid0(VALU_DEP_4) | instskip(NEXT) | instid1(VALU_DEP_4)
	v_mul_f64 v[50:51], v[30:31], v[44:45]
	v_mul_f64 v[55:56], v[32:33], v[46:47]
	v_fma_f64 v[66:67], v[32:33], v[46:47], v[24:25]
	v_fma_f64 v[46:47], v[32:33], v[46:47], -v[24:25]
	v_fma_f64 v[70:71], v[32:33], v[42:43], v[24:25]
	v_fma_f64 v[53:54], v[30:31], v[26:27], v[40:41]
	;; [unrolled: 1-line block ×3, first 2 shown]
	v_fma_f64 v[72:73], v[32:33], v[42:43], -v[55:56]
	v_fma_f64 v[66:67], v[36:37], v[66:67], v[0:1]
	v_fma_f64 v[44:45], v[30:31], v[44:45], v[40:41]
	v_mul_f64 v[48:49], v[48:49], v[53:54]
	v_fma_f64 v[53:54], v[38:39], v[53:54], v[4:5]
	s_delay_alu instid0(VALU_DEP_4) | instskip(NEXT) | instid1(VALU_DEP_3)
	v_fma_f64 v[66:67], v[18:19], v[66:67], 0
	v_fma_f64 v[46:47], v[46:47], v[68:69], v[48:49]
	;; [unrolled: 1-line block ×5, first 2 shown]
	v_mul_f64 v[42:43], v[32:33], v[42:43]
	v_fma_f64 v[46:47], v[72:73], v[44:45], v[46:47]
	v_fma_f64 v[48:49], v[18:19], v[48:49], 0
	;; [unrolled: 1-line block ×5, first 2 shown]
	ds_store_2addr_b64 v65, v[55:56], v[42:43] offset1:2
	ds_store_2addr_b64 v65, v[50:51], v[40:41] offset0:10 offset1:12
	ds_store_2addr_b64 v65, v[34:35], v[34:35] offset0:20 offset1:22
	v_mul_f64 v[46:47], v[46:47], 0.5
	v_fma_f64 v[48:49], v[18:19], v[53:54], v[48:49]
	v_fma_f64 v[53:54], v[18:19], v[70:71], v[66:67]
	s_delay_alu instid0(VALU_DEP_3) | instskip(NEXT) | instid1(VALU_DEP_3)
	v_mul_f64 v[46:47], v[46:47], s[0:1]
	v_fma_f64 v[44:45], v[18:19], v[44:45], v[48:49]
	s_delay_alu instid0(VALU_DEP_2) | instskip(NEXT) | instid1(VALU_DEP_4)
	v_fma_f64 v[48:49], v[20:21], v[46:47], 0
	v_fma_f64 v[53:54], v[53:54], v[46:47], 0
	s_delay_alu instid0(VALU_DEP_3) | instskip(SKIP_1) | instid1(VALU_DEP_4)
	v_fma_f64 v[44:45], v[46:47], v[44:45], 0
	v_fma_f64 v[46:47], v[22:23], v[46:47], 0
	;; [unrolled: 1-line block ×3, first 2 shown]
	s_delay_alu instid0(VALU_DEP_4) | instskip(NEXT) | instid1(VALU_DEP_4)
	v_fma_f64 v[14:15], v[2:3], v[53:54], v[14:15]
	v_fma_f64 v[8:9], v[2:3], v[44:45], v[8:9]
	s_delay_alu instid0(VALU_DEP_4)
	v_fma_f64 v[10:11], v[2:3], v[46:47], v[10:11]
	s_and_not1_b32 exec_lo, exec_lo, s3
	s_cbranch_execz .LBB2_419
.LBB2_392:                              ; =>This Inner Loop Header: Depth=1
	scratch_load_u8 v54, v52, off
	s_mov_b32 s4, exec_lo
                                        ; implicit-def: $vgpr56
                                        ; implicit-def: $vgpr42
                                        ; implicit-def: $vgpr55
                                        ; implicit-def: $vgpr26
                                        ; implicit-def: $vgpr66
                                        ; implicit-def: $vgpr27
                                        ; implicit-def: $vgpr24
	s_waitcnt vmcnt(0)
	v_lshrrev_b32_e32 v53, 2, v54
	s_delay_alu instid0(VALU_DEP_1)
	v_cmpx_lt_i32_e32 1, v53
	s_xor_b32 s4, exec_lo, s4
	s_cbranch_execz .LBB2_406
; %bb.393:                              ;   in Loop: Header=BB2_392 Depth=1
	s_mov_b32 s5, exec_lo
                                        ; implicit-def: $vgpr56
                                        ; implicit-def: $vgpr42
                                        ; implicit-def: $vgpr55
                                        ; implicit-def: $vgpr26
                                        ; implicit-def: $vgpr66
                                        ; implicit-def: $vgpr27
                                        ; implicit-def: $vgpr24
	v_cmpx_lt_i32_e32 2, v53
	s_xor_b32 s5, exec_lo, s5
	s_cbranch_execz .LBB2_403
; %bb.394:                              ;   in Loop: Header=BB2_392 Depth=1
	s_mov_b32 s6, exec_lo
                                        ; implicit-def: $vgpr56
                                        ; implicit-def: $vgpr42
                                        ; implicit-def: $vgpr55
                                        ; implicit-def: $vgpr26
                                        ; implicit-def: $vgpr66
                                        ; implicit-def: $vgpr27
                                        ; implicit-def: $vgpr24
	v_cmpx_lt_i32_e32 3, v53
	s_xor_b32 s6, exec_lo, s6
	s_cbranch_execz .LBB2_400
; %bb.395:                              ;   in Loop: Header=BB2_392 Depth=1
	s_mov_b32 s7, exec_lo
                                        ; implicit-def: $sgpr8
                                        ; implicit-def: $sgpr9
                                        ; implicit-def: $sgpr10
                                        ; implicit-def: $sgpr11
	v_cmpx_ne_u32_e32 4, v53
	s_xor_b32 s7, exec_lo, s7
; %bb.396:                              ;   in Loop: Header=BB2_392 Depth=1
	s_mov_b32 s11, 4
	s_mov_b32 s10, 6
	;; [unrolled: 1-line block ×4, first 2 shown]
; %bb.397:                              ;   in Loop: Header=BB2_392 Depth=1
	s_or_saveexec_b32 s7, s7
	v_dual_mov_b32 v56, s8 :: v_dual_mov_b32 v55, s9
	v_dual_mov_b32 v66, s10 :: v_dual_mov_b32 v53, s11
	;; [unrolled: 1-line block ×3, first 2 shown]
	v_mov_b32_e32 v26, v63
	v_mov_b32_e32 v24, v62
	s_xor_b32 exec_lo, exec_lo, s7
; %bb.398:                              ;   in Loop: Header=BB2_392 Depth=1
	v_dual_mov_b32 v24, 0xf0 :: v_dual_mov_b32 v55, 3
	v_dual_mov_b32 v56, 2 :: v_dual_mov_b32 v53, 0
	;; [unrolled: 1-line block ×3, first 2 shown]
	v_mov_b32_e32 v42, v58
	v_mov_b32_e32 v26, v61
; %bb.399:                              ;   in Loop: Header=BB2_392 Depth=1
	s_or_b32 exec_lo, exec_lo, s7
.LBB2_400:                              ;   in Loop: Header=BB2_392 Depth=1
	s_and_not1_saveexec_b32 s6, s6
; %bb.401:                              ;   in Loop: Header=BB2_392 Depth=1
	v_dual_mov_b32 v56, 6 :: v_dual_mov_b32 v55, 7
	v_dual_mov_b32 v66, 3 :: v_dual_mov_b32 v53, 2
	v_dual_mov_b32 v42, v59 :: v_dual_mov_b32 v27, v61
	v_mov_b32_e32 v26, v63
	v_mov_b32_e32 v24, v58
; %bb.402:                              ;   in Loop: Header=BB2_392 Depth=1
	s_or_b32 exec_lo, exec_lo, s6
.LBB2_403:                              ;   in Loop: Header=BB2_392 Depth=1
	s_and_not1_saveexec_b32 s5, s5
; %bb.404:                              ;   in Loop: Header=BB2_392 Depth=1
	v_dual_mov_b32 v24, 0xf0 :: v_dual_mov_b32 v55, 5
	v_dual_mov_b32 v56, 1 :: v_dual_mov_b32 v53, 0
	;; [unrolled: 1-line block ×3, first 2 shown]
	v_mov_b32_e32 v42, v60
	v_mov_b32_e32 v26, v57
; %bb.405:                              ;   in Loop: Header=BB2_392 Depth=1
	s_or_b32 exec_lo, exec_lo, s5
.LBB2_406:                              ;   in Loop: Header=BB2_392 Depth=1
	s_and_not1_saveexec_b32 s4, s4
	s_cbranch_execz .LBB2_410
; %bb.407:                              ;   in Loop: Header=BB2_392 Depth=1
	v_dual_mov_b32 v24, 0xf0 :: v_dual_mov_b32 v55, 6
	v_dual_mov_b32 v56, 4 :: v_dual_mov_b32 v27, v58
	v_mov_b32_e32 v66, 2
	v_mov_b32_e32 v42, v62
	;; [unrolled: 1-line block ×3, first 2 shown]
	s_mov_b32 s5, exec_lo
	v_cmpx_lt_i32_e32 0, v53
; %bb.408:                              ;   in Loop: Header=BB2_392 Depth=1
	v_dual_mov_b32 v56, 3 :: v_dual_mov_b32 v55, 7
	v_dual_mov_b32 v66, 5 :: v_dual_mov_b32 v53, 1
	v_mov_b32_e32 v42, v61
	v_dual_mov_b32 v26, v63 :: v_dual_mov_b32 v27, v57
	v_mov_b32_e32 v24, v60
; %bb.409:                              ;   in Loop: Header=BB2_392 Depth=1
	s_or_b32 exec_lo, exec_lo, s5
.LBB2_410:                              ;   in Loop: Header=BB2_392 Depth=1
	s_delay_alu instid0(SALU_CYCLE_1)
	s_or_b32 exec_lo, exec_lo, s4
	v_lshl_add_u32 v44, v53, 3, v64
	v_lshl_add_u32 v45, v66, 3, v64
	;; [unrolled: 1-line block ×4, first 2 shown]
	scratch_load_b64 v[24:25], v24, off
	scratch_load_b64 v[40:41], v27, off
	;; [unrolled: 1-line block ×4, first 2 shown]
	s_clause 0x3
	scratch_load_b64 v[46:47], v44, off
	scratch_load_b64 v[50:51], v45, off
	scratch_load_b64 v[48:49], v48, off
	scratch_load_b64 v[44:45], v67, off
	v_and_b32_e32 v67, 3, v54
	s_mov_b32 s4, exec_lo
                                        ; implicit-def: $vgpr54
	s_delay_alu instid0(VALU_DEP_1)
	v_cmpx_lt_i32_e32 1, v67
	s_xor_b32 s4, exec_lo, s4
	s_cbranch_execz .LBB2_416
; %bb.411:                              ;   in Loop: Header=BB2_392 Depth=1
	s_mov_b32 s5, exec_lo
	v_cmpx_lt_i32_e32 2, v67
	s_xor_b32 s5, exec_lo, s5
; %bb.412:                              ;   in Loop: Header=BB2_392 Depth=1
                                        ; implicit-def: $vgpr55
; %bb.413:                              ;   in Loop: Header=BB2_392 Depth=1
	s_delay_alu instid0(SALU_CYCLE_1)
	s_or_saveexec_b32 s5, s5
	v_mov_b32_e32 v54, v56
	s_xor_b32 exec_lo, exec_lo, s5
; %bb.414:                              ;   in Loop: Header=BB2_392 Depth=1
	v_dual_mov_b32 v54, v55 :: v_dual_mov_b32 v53, v56
; %bb.415:                              ;   in Loop: Header=BB2_392 Depth=1
	s_or_b32 exec_lo, exec_lo, s5
                                        ; implicit-def: $vgpr66
                                        ; implicit-def: $vgpr55
                                        ; implicit-def: $vgpr67
.LBB2_416:                              ;   in Loop: Header=BB2_392 Depth=1
	s_and_not1_saveexec_b32 s4, s4
	s_cbranch_execz .LBB2_391
; %bb.417:                              ;   in Loop: Header=BB2_392 Depth=1
	s_mov_b32 s5, exec_lo
	v_cmpx_eq_u32_e32 1, v67
	s_cbranch_execz .LBB2_390
; %bb.418:                              ;   in Loop: Header=BB2_392 Depth=1
	v_dual_mov_b32 v53, v66 :: v_dual_mov_b32 v66, v55
	s_branch .LBB2_390
.LBB2_419:
	s_or_b32 exec_lo, exec_lo, s3
	v_mul_f64 v[16:17], v[30:31], v[26:27]
	ds_store_2addr_b64 v65, v[24:25], v[16:17] offset0:1 offset1:11
	ds_store_b64 v65, v[34:35] offset:168
.LBB2_420:
	s_or_b32 exec_lo, exec_lo, s2
	scratch_load_b32 v17, off, off
	s_waitcnt vmcnt(0)
	v_and_b32_e32 v16, 1, v17
	s_delay_alu instid0(VALU_DEP_1)
	v_cmp_eq_u32_e32 vcc_lo, 1, v16
	v_mov_b32_e32 v16, 0
	s_and_saveexec_b32 s0, vcc_lo
	s_cbranch_execz .LBB2_422
; %bb.421:
	v_mov_b32_e32 v18, 0
	v_mov_b32_e32 v16, 1
	scratch_store_b8 off, v18, off offset:16
.LBB2_422:
	s_or_b32 exec_lo, exec_lo, s0
	v_and_b32_e32 v18, 2, v17
	s_mov_b32 s0, exec_lo
	s_delay_alu instid0(VALU_DEP_1)
	v_cmpx_ne_u32_e32 0, v18
	s_cbranch_execz .LBB2_424
; %bb.423:
	v_add_nc_u32_e32 v18, 1, v16
	v_or_b32_e32 v19, 16, v16
	v_mov_b32_e32 v20, 1
	s_delay_alu instid0(VALU_DEP_3)
	v_mov_b32_e32 v16, v18
	scratch_store_b8 v19, v20, off
.LBB2_424:
	s_or_b32 exec_lo, exec_lo, s0
	v_and_b32_e32 v18, 4, v17
	s_mov_b32 s0, exec_lo
	s_delay_alu instid0(VALU_DEP_1)
	v_cmpx_ne_u32_e32 0, v18
	s_cbranch_execz .LBB2_426
; %bb.425:
	v_or_b32_e32 v18, 16, v16
	v_dual_mov_b32 v19, 2 :: v_dual_add_nc_u32 v16, 1, v16
	scratch_store_b8 v18, v19, off
.LBB2_426:
	s_or_b32 exec_lo, exec_lo, s0
	v_and_b32_e32 v18, 8, v17
	s_mov_b32 s0, exec_lo
	s_delay_alu instid0(VALU_DEP_1)
	v_cmpx_ne_u32_e32 0, v18
	s_cbranch_execz .LBB2_428
; %bb.427:
	v_or_b32_e32 v18, 16, v16
	v_dual_mov_b32 v19, 3 :: v_dual_add_nc_u32 v16, 1, v16
	scratch_store_b8 v18, v19, off
.LBB2_428:
	;; [unrolled: 11-line block ×3, first 2 shown]
	s_or_b32 exec_lo, exec_lo, s0
	v_and_b32_e32 v18, 32, v17
	s_mov_b32 s0, exec_lo
	s_delay_alu instid0(VALU_DEP_1)
	v_cmpx_ne_u32_e32 0, v18
	s_cbranch_execz .LBB2_432
; %bb.431:
	v_dual_mov_b32 v18, 5 :: v_dual_add_nc_u32 v19, 1, v16
	scratch_store_b8 v16, v18, off offset:16
	v_mov_b32_e32 v16, v19
.LBB2_432:
	s_or_b32 exec_lo, exec_lo, s0
	v_and_b32_e32 v18, 64, v17
	s_mov_b32 s0, exec_lo
	s_delay_alu instid0(VALU_DEP_1)
	v_cmpx_ne_u32_e32 0, v18
	s_cbranch_execz .LBB2_434
; %bb.433:
	v_dual_mov_b32 v18, 6 :: v_dual_add_nc_u32 v19, 1, v16
	scratch_store_b8 v16, v18, off offset:16
	v_mov_b32_e32 v16, v19
.LBB2_434:
	;; [unrolled: 11-line block ×19, first 2 shown]
	s_or_b32 exec_lo, exec_lo, s0
	s_mov_b32 s3, 0
	s_mov_b32 s2, exec_lo
	s_delay_alu instid0(VALU_DEP_1)
	v_cmpx_ne_u32_e32 0, v16
	s_cbranch_execz .LBB2_500
; %bb.469:
	v_dual_mov_b32 v17, 0 :: v_dual_mov_b32 v52, 16
	s_mov_b32 s0, 0x55555555
	s_mov_b32 s1, 0x3fd55555
	s_branch .LBB2_472
.LBB2_470:                              ;   in Loop: Header=BB2_472 Depth=1
	s_or_b32 exec_lo, exec_lo, s5
	s_delay_alu instid0(VALU_DEP_1)
	v_dual_mov_b32 v54, v53 :: v_dual_mov_b32 v53, v64
.LBB2_471:                              ;   in Loop: Header=BB2_472 Depth=1
	s_or_b32 exec_lo, exec_lo, s4
	s_delay_alu instid0(VALU_DEP_1) | instskip(NEXT) | instid1(VALU_DEP_2)
	v_lshl_add_u32 v64, v53, 3, 0xf0
	v_lshl_add_u32 v70, v54, 3, 0xf0
	s_waitcnt vmcnt(10)
	v_add_f64 v[18:19], v[18:19], v[20:21]
	s_waitcnt vmcnt(4)
	v_add_f64 v[20:21], v[26:27], v[48:49]
	v_add_co_u32 v16, vcc_lo, v16, -1
	v_add_nc_u32_e32 v53, 64, v64
	v_add_nc_u32_e32 v66, 64, v70
	;; [unrolled: 1-line block ×3, first 2 shown]
	v_add_co_ci_u32_e32 v17, vcc_lo, -1, v17, vcc_lo
	s_clause 0x4
	scratch_load_b64 v[55:56], v53, off
	scratch_load_b64 v[53:54], v64, off
	;; [unrolled: 1-line block ×5, first 2 shown]
	v_add_nc_u32_e32 v64, 0x80, v64
	v_cmp_eq_u64_e32 vcc_lo, 0, v[16:17]
	v_add_nc_u32_e32 v52, 1, v52
	scratch_load_b64 v[72:73], v64, off
	s_or_b32 s3, vcc_lo, s3
	v_add_f64 v[18:19], v[18:19], v[22:23]
	s_waitcnt vmcnt(9)
	v_add_f64 v[22:23], v[46:47], v[42:43]
	v_add_f64 v[20:21], v[20:21], v[34:35]
	s_delay_alu instid0(VALU_DEP_3) | instskip(SKIP_1) | instid1(VALU_DEP_3)
	v_add_f64 v[18:19], v[18:19], v[24:25]
	s_waitcnt vmcnt(6)
	v_add_f64 v[22:23], v[22:23], v[50:51]
	s_delay_alu instid0(VALU_DEP_3) | instskip(NEXT) | instid1(VALU_DEP_3)
	v_add_f64 v[20:21], v[20:21], v[44:45]
	v_fma_f64 v[18:19], 0x3fd00000, v[18:19], -v[0:1]
	s_delay_alu instid0(VALU_DEP_3) | instskip(NEXT) | instid1(VALU_DEP_3)
	v_add_f64 v[22:23], v[22:23], v[40:41]
	v_fma_f64 v[20:21], 0x3fd00000, v[20:21], -v[4:5]
	s_delay_alu instid0(VALU_DEP_3) | instskip(NEXT) | instid1(VALU_DEP_3)
	v_mul_f64 v[18:19], v[32:33], v[18:19]
	v_fma_f64 v[22:23], 0x3fd00000, v[22:23], -v[6:7]
	s_waitcnt vmcnt(4)
	v_add_f64 v[26:27], v[53:54], -v[0:1]
	s_waitcnt vmcnt(3)
	v_add_f64 v[34:35], v[66:67], -v[4:5]
	v_add_f64 v[24:25], v[55:56], -v[4:5]
	s_waitcnt vmcnt(2)
	v_add_f64 v[40:41], v[68:69], -v[6:7]
	s_waitcnt vmcnt(1)
	;; [unrolled: 2-line block ×3, first 2 shown]
	v_add_f64 v[50:51], v[72:73], -v[6:7]
	v_fma_f64 v[44:45], -v[32:33], v[26:27], v[18:19]
	v_mul_f64 v[46:47], v[30:31], v[34:35]
	v_mul_f64 v[24:25], v[30:31], v[24:25]
	v_add_f64 v[53:54], v[22:23], v[40:41]
	v_mul_f64 v[55:56], v[32:33], v[42:43]
	v_fma_f64 v[66:67], v[32:33], v[42:43], v[18:19]
	v_fma_f64 v[42:43], v[32:33], v[42:43], -v[18:19]
	v_fma_f64 v[74:75], v[32:33], v[26:27], v[18:19]
	v_add_f64 v[70:71], v[22:23], v[50:51]
	v_add_f64 v[76:77], v[40:41], v[50:51]
	v_fma_f64 v[68:69], v[30:31], v[20:21], v[46:47]
	v_fma_f64 v[48:49], v[30:31], v[20:21], v[24:25]
	v_mul_f64 v[72:73], v[53:54], 0.5
	v_fma_f64 v[78:79], v[32:33], v[26:27], -v[55:56]
	v_fma_f64 v[66:67], v[36:37], v[66:67], v[0:1]
	v_fma_f64 v[34:35], v[30:31], v[34:35], v[24:25]
	;; [unrolled: 1-line block ×4, first 2 shown]
	v_fma_f64 v[53:54], v[53:54], 0.5, 0
	v_mul_f64 v[84:85], v[76:77], 0.5
	v_mul_f64 v[26:27], v[32:33], v[26:27]
	v_mul_f64 v[44:45], v[44:45], v[48:49]
	v_fma_f64 v[80:81], v[72:73], 0.5, v[6:7]
	v_fma_f64 v[48:49], v[38:39], v[48:49], v[4:5]
	v_fma_f64 v[66:67], v[66:67], v[72:73], 0
	v_fma_f64 v[53:54], v[70:71], 0.5, v[53:54]
	ds_store_2addr_b64 v65, v[55:56], v[26:27] offset1:2
	ds_store_2addr_b64 v65, v[46:47], v[24:25] offset0:10 offset1:12
	ds_store_2addr_b64 v65, v[40:41], v[50:51] offset0:20 offset1:22
	v_fma_f64 v[42:43], v[42:43], v[68:69], v[44:45]
	v_mul_f64 v[44:45], v[70:71], 0.5
	v_fma_f64 v[68:69], v[38:39], v[68:69], v[4:5]
	v_fma_f64 v[70:71], v[84:85], 0.5, v[6:7]
	v_fma_f64 v[53:54], v[76:77], 0.5, v[53:54]
	v_fma_f64 v[42:43], v[78:79], v[34:35], v[42:43]
	v_fma_f64 v[78:79], v[44:45], 0.5, v[6:7]
	v_fma_f64 v[68:69], v[68:69], v[72:73], 0
	v_fma_f64 v[72:73], v[72:73], v[80:81], 0
	;; [unrolled: 1-line block ×5, first 2 shown]
	v_mul_f64 v[42:43], v[42:43], 0.5
	v_fma_f64 v[48:49], v[48:49], v[44:45], v[68:69]
	v_fma_f64 v[44:45], v[44:45], v[78:79], v[72:73]
	s_delay_alu instid0(VALU_DEP_4) | instskip(NEXT) | instid1(VALU_DEP_4)
	v_fma_f64 v[66:67], v[80:81], v[84:85], v[66:67]
	v_mul_f64 v[42:43], v[42:43], s[0:1]
	s_delay_alu instid0(VALU_DEP_4) | instskip(NEXT) | instid1(VALU_DEP_4)
	v_fma_f64 v[34:35], v[34:35], v[84:85], v[48:49]
	v_fma_f64 v[44:45], v[84:85], v[70:71], v[44:45]
	s_delay_alu instid0(VALU_DEP_3) | instskip(SKIP_1) | instid1(VALU_DEP_4)
	v_fma_f64 v[48:49], v[42:43], v[53:54], 0
	v_fma_f64 v[53:54], v[42:43], v[66:67], 0
	;; [unrolled: 1-line block ×3, first 2 shown]
	s_delay_alu instid0(VALU_DEP_4) | instskip(NEXT) | instid1(VALU_DEP_4)
	v_fma_f64 v[42:43], v[42:43], v[44:45], 0
	v_fma_f64 v[12:13], v[2:3], v[48:49], v[12:13]
	s_delay_alu instid0(VALU_DEP_4) | instskip(NEXT) | instid1(VALU_DEP_4)
	v_fma_f64 v[14:15], v[2:3], v[53:54], v[14:15]
	v_fma_f64 v[8:9], v[2:3], v[34:35], v[8:9]
	s_delay_alu instid0(VALU_DEP_4)
	v_fma_f64 v[10:11], v[2:3], v[42:43], v[10:11]
	s_and_not1_b32 exec_lo, exec_lo, s3
	s_cbranch_execz .LBB2_499
.LBB2_472:                              ; =>This Inner Loop Header: Depth=1
	scratch_load_u8 v54, v52, off
	s_mov_b32 s4, exec_lo
                                        ; implicit-def: $vgpr56
                                        ; implicit-def: $vgpr24
                                        ; implicit-def: $vgpr55
                                        ; implicit-def: $vgpr22
                                        ; implicit-def: $vgpr64
                                        ; implicit-def: $vgpr20
                                        ; implicit-def: $vgpr18
	s_waitcnt vmcnt(0)
	v_lshrrev_b32_e32 v53, 2, v54
	s_delay_alu instid0(VALU_DEP_1)
	v_cmpx_lt_i32_e32 1, v53
	s_xor_b32 s4, exec_lo, s4
	s_cbranch_execz .LBB2_486
; %bb.473:                              ;   in Loop: Header=BB2_472 Depth=1
	s_mov_b32 s5, exec_lo
                                        ; implicit-def: $vgpr56
                                        ; implicit-def: $vgpr24
                                        ; implicit-def: $vgpr55
                                        ; implicit-def: $vgpr22
                                        ; implicit-def: $vgpr64
                                        ; implicit-def: $vgpr20
                                        ; implicit-def: $vgpr18
	v_cmpx_lt_i32_e32 2, v53
	s_xor_b32 s5, exec_lo, s5
	s_cbranch_execz .LBB2_483
; %bb.474:                              ;   in Loop: Header=BB2_472 Depth=1
	s_mov_b32 s6, exec_lo
                                        ; implicit-def: $vgpr56
                                        ; implicit-def: $vgpr24
                                        ; implicit-def: $vgpr55
                                        ; implicit-def: $vgpr22
                                        ; implicit-def: $vgpr64
                                        ; implicit-def: $vgpr20
                                        ; implicit-def: $vgpr18
	v_cmpx_lt_i32_e32 3, v53
	s_xor_b32 s6, exec_lo, s6
	s_cbranch_execz .LBB2_480
; %bb.475:                              ;   in Loop: Header=BB2_472 Depth=1
	s_mov_b32 s7, exec_lo
                                        ; implicit-def: $sgpr8
                                        ; implicit-def: $sgpr9
                                        ; implicit-def: $sgpr10
                                        ; implicit-def: $sgpr11
	v_cmpx_ne_u32_e32 4, v53
	s_xor_b32 s7, exec_lo, s7
; %bb.476:                              ;   in Loop: Header=BB2_472 Depth=1
	s_mov_b32 s11, 4
	s_mov_b32 s10, 6
	;; [unrolled: 1-line block ×4, first 2 shown]
; %bb.477:                              ;   in Loop: Header=BB2_472 Depth=1
	s_or_saveexec_b32 s7, s7
	v_dual_mov_b32 v56, s8 :: v_dual_mov_b32 v55, s9
	v_dual_mov_b32 v64, s10 :: v_dual_mov_b32 v53, s11
	v_mov_b32_e32 v24, v57
	v_mov_b32_e32 v22, v63
	;; [unrolled: 1-line block ×4, first 2 shown]
	s_xor_b32 exec_lo, exec_lo, s7
; %bb.478:                              ;   in Loop: Header=BB2_472 Depth=1
	v_dual_mov_b32 v18, 0xf0 :: v_dual_mov_b32 v55, 3
	v_dual_mov_b32 v56, 2 :: v_dual_mov_b32 v53, 0
	v_mov_b32_e32 v64, 1
	v_mov_b32_e32 v24, v58
	;; [unrolled: 1-line block ×4, first 2 shown]
; %bb.479:                              ;   in Loop: Header=BB2_472 Depth=1
	s_or_b32 exec_lo, exec_lo, s7
.LBB2_480:                              ;   in Loop: Header=BB2_472 Depth=1
	s_and_not1_saveexec_b32 s6, s6
; %bb.481:                              ;   in Loop: Header=BB2_472 Depth=1
	v_dual_mov_b32 v56, 6 :: v_dual_mov_b32 v55, 7
	v_dual_mov_b32 v64, 3 :: v_dual_mov_b32 v53, 2
	v_mov_b32_e32 v24, v59
	v_mov_b32_e32 v22, v63
	;; [unrolled: 1-line block ×4, first 2 shown]
; %bb.482:                              ;   in Loop: Header=BB2_472 Depth=1
	s_or_b32 exec_lo, exec_lo, s6
.LBB2_483:                              ;   in Loop: Header=BB2_472 Depth=1
	s_and_not1_saveexec_b32 s5, s5
; %bb.484:                              ;   in Loop: Header=BB2_472 Depth=1
	v_dual_mov_b32 v18, 0xf0 :: v_dual_mov_b32 v55, 5
	v_dual_mov_b32 v56, 1 :: v_dual_mov_b32 v53, 0
	v_mov_b32_e32 v64, 4
	v_mov_b32_e32 v24, v60
	;; [unrolled: 1-line block ×4, first 2 shown]
; %bb.485:                              ;   in Loop: Header=BB2_472 Depth=1
	s_or_b32 exec_lo, exec_lo, s5
.LBB2_486:                              ;   in Loop: Header=BB2_472 Depth=1
	s_and_not1_saveexec_b32 s4, s4
	s_cbranch_execz .LBB2_490
; %bb.487:                              ;   in Loop: Header=BB2_472 Depth=1
	v_dual_mov_b32 v18, 0xf0 :: v_dual_mov_b32 v55, 6
	v_mov_b32_e32 v56, 4
	v_mov_b32_e32 v64, 2
	;; [unrolled: 1-line block ×5, first 2 shown]
	s_mov_b32 s5, exec_lo
	v_cmpx_lt_i32_e32 0, v53
; %bb.488:                              ;   in Loop: Header=BB2_472 Depth=1
	v_dual_mov_b32 v56, 3 :: v_dual_mov_b32 v55, 7
	v_dual_mov_b32 v64, 5 :: v_dual_mov_b32 v53, 1
	v_mov_b32_e32 v24, v61
	v_mov_b32_e32 v22, v63
	;; [unrolled: 1-line block ×4, first 2 shown]
; %bb.489:                              ;   in Loop: Header=BB2_472 Depth=1
	s_or_b32 exec_lo, exec_lo, s5
.LBB2_490:                              ;   in Loop: Header=BB2_472 Depth=1
	s_delay_alu instid0(SALU_CYCLE_1)
	s_or_b32 exec_lo, exec_lo, s4
	v_lshl_add_u32 v50, v55, 3, 0xf0
	v_lshl_add_u32 v40, v53, 3, 0xf0
	;; [unrolled: 1-line block ×4, first 2 shown]
	scratch_load_b64 v[18:19], v18, off
	scratch_load_b64 v[20:21], v20, off
	;; [unrolled: 1-line block ×4, first 2 shown]
	s_clause 0x7
	scratch_load_b64 v[26:27], v40, off offset:64
	scratch_load_b64 v[34:35], v50, off offset:64
	;; [unrolled: 1-line block ×8, first 2 shown]
	v_and_b32_e32 v66, 3, v54
	s_mov_b32 s4, exec_lo
                                        ; implicit-def: $vgpr54
	s_delay_alu instid0(VALU_DEP_1)
	v_cmpx_lt_i32_e32 1, v66
	s_xor_b32 s4, exec_lo, s4
	s_cbranch_execz .LBB2_496
; %bb.491:                              ;   in Loop: Header=BB2_472 Depth=1
	s_mov_b32 s5, exec_lo
	v_cmpx_lt_i32_e32 2, v66
	s_xor_b32 s5, exec_lo, s5
; %bb.492:                              ;   in Loop: Header=BB2_472 Depth=1
                                        ; implicit-def: $vgpr55
; %bb.493:                              ;   in Loop: Header=BB2_472 Depth=1
	s_delay_alu instid0(SALU_CYCLE_1)
	s_or_saveexec_b32 s5, s5
	v_mov_b32_e32 v54, v56
	s_xor_b32 exec_lo, exec_lo, s5
; %bb.494:                              ;   in Loop: Header=BB2_472 Depth=1
	v_dual_mov_b32 v54, v55 :: v_dual_mov_b32 v53, v56
; %bb.495:                              ;   in Loop: Header=BB2_472 Depth=1
	s_or_b32 exec_lo, exec_lo, s5
                                        ; implicit-def: $vgpr64
                                        ; implicit-def: $vgpr55
                                        ; implicit-def: $vgpr66
.LBB2_496:                              ;   in Loop: Header=BB2_472 Depth=1
	s_and_not1_saveexec_b32 s4, s4
	s_cbranch_execz .LBB2_471
; %bb.497:                              ;   in Loop: Header=BB2_472 Depth=1
	s_mov_b32 s5, exec_lo
	v_cmpx_eq_u32_e32 1, v66
	s_cbranch_execz .LBB2_470
; %bb.498:                              ;   in Loop: Header=BB2_472 Depth=1
	v_dual_mov_b32 v53, v64 :: v_dual_mov_b32 v64, v55
	s_branch .LBB2_470
.LBB2_499:
	s_or_b32 exec_lo, exec_lo, s3
	v_mul_f64 v[0:1], v[30:31], v[20:21]
	ds_store_2addr_b64 v65, v[18:19], v[0:1] offset0:1 offset1:11
	ds_store_b64 v65, v[22:23] offset:168
.LBB2_500:
	s_or_b32 exec_lo, exec_lo, s2
	v_lshlrev_b64 v[0:1], 5, v[28:29]
	s_delay_alu instid0(VALU_DEP_1) | instskip(NEXT) | instid1(VALU_DEP_2)
	v_add_co_u32 v0, vcc_lo, s12, v0
	v_add_co_ci_u32_e32 v1, vcc_lo, s13, v1, vcc_lo
	s_clause 0x1
	global_store_b128 v[0:1], v[12:15], off
	global_store_b128 v[0:1], v[8:11], off offset:16
.LBB2_501:
	s_endpgm
	.section	.rodata,"a",@progbits
	.p2align	6, 0x0
	.amdhsa_kernel _ZN4RAJA6policy3hip4impl18forallp_hip_kernelINS1_8hip_execINS_17iteration_mapping6DirectENS_3hip11IndexGlobalILNS_9named_dimE0ELi64ELi0EEENS7_40AvoidDeviceMaxThreadOccupancyConcretizerINS7_34FractionOffsetOccupancyConcretizerINS_8FractionImLm1ELm1EEELln1EEEEELb1EEENS_9Iterators16numeric_iteratorIllPlEEZN8rajaperf4apps13INTSC_HEXRECT17runHipVariantImplILm64EEEvNSM_9VariantIDEEUllE0_lNS_4expt15ForallParamPackIJEEES6_SA_TnNSt9enable_ifIXaasr3std10is_base_ofINS5_10DirectBaseET4_EE5valuegtsrT5_10block_sizeLi0EEmE4typeELm64EEEvT1_T0_T2_T3_
		.amdhsa_group_segment_fixed_size 15872
		.amdhsa_private_segment_fixed_size 448
		.amdhsa_kernarg_size 92
		.amdhsa_user_sgpr_count 15
		.amdhsa_user_sgpr_dispatch_ptr 0
		.amdhsa_user_sgpr_queue_ptr 0
		.amdhsa_user_sgpr_kernarg_segment_ptr 1
		.amdhsa_user_sgpr_dispatch_id 0
		.amdhsa_user_sgpr_private_segment_size 0
		.amdhsa_wavefront_size32 1
		.amdhsa_uses_dynamic_stack 0
		.amdhsa_enable_private_segment 1
		.amdhsa_system_sgpr_workgroup_id_x 1
		.amdhsa_system_sgpr_workgroup_id_y 0
		.amdhsa_system_sgpr_workgroup_id_z 0
		.amdhsa_system_sgpr_workgroup_info 0
		.amdhsa_system_vgpr_workitem_id 0
		.amdhsa_next_free_vgpr 112
		.amdhsa_next_free_sgpr 28
		.amdhsa_reserve_vcc 1
		.amdhsa_float_round_mode_32 0
		.amdhsa_float_round_mode_16_64 0
		.amdhsa_float_denorm_mode_32 3
		.amdhsa_float_denorm_mode_16_64 3
		.amdhsa_dx10_clamp 1
		.amdhsa_ieee_mode 1
		.amdhsa_fp16_overflow 0
		.amdhsa_workgroup_processor_mode 1
		.amdhsa_memory_ordered 1
		.amdhsa_forward_progress 0
		.amdhsa_shared_vgpr_count 0
		.amdhsa_exception_fp_ieee_invalid_op 0
		.amdhsa_exception_fp_denorm_src 0
		.amdhsa_exception_fp_ieee_div_zero 0
		.amdhsa_exception_fp_ieee_overflow 0
		.amdhsa_exception_fp_ieee_underflow 0
		.amdhsa_exception_fp_ieee_inexact 0
		.amdhsa_exception_int_div_zero 0
	.end_amdhsa_kernel
	.section	.text._ZN4RAJA6policy3hip4impl18forallp_hip_kernelINS1_8hip_execINS_17iteration_mapping6DirectENS_3hip11IndexGlobalILNS_9named_dimE0ELi64ELi0EEENS7_40AvoidDeviceMaxThreadOccupancyConcretizerINS7_34FractionOffsetOccupancyConcretizerINS_8FractionImLm1ELm1EEELln1EEEEELb1EEENS_9Iterators16numeric_iteratorIllPlEEZN8rajaperf4apps13INTSC_HEXRECT17runHipVariantImplILm64EEEvNSM_9VariantIDEEUllE0_lNS_4expt15ForallParamPackIJEEES6_SA_TnNSt9enable_ifIXaasr3std10is_base_ofINS5_10DirectBaseET4_EE5valuegtsrT5_10block_sizeLi0EEmE4typeELm64EEEvT1_T0_T2_T3_,"axG",@progbits,_ZN4RAJA6policy3hip4impl18forallp_hip_kernelINS1_8hip_execINS_17iteration_mapping6DirectENS_3hip11IndexGlobalILNS_9named_dimE0ELi64ELi0EEENS7_40AvoidDeviceMaxThreadOccupancyConcretizerINS7_34FractionOffsetOccupancyConcretizerINS_8FractionImLm1ELm1EEELln1EEEEELb1EEENS_9Iterators16numeric_iteratorIllPlEEZN8rajaperf4apps13INTSC_HEXRECT17runHipVariantImplILm64EEEvNSM_9VariantIDEEUllE0_lNS_4expt15ForallParamPackIJEEES6_SA_TnNSt9enable_ifIXaasr3std10is_base_ofINS5_10DirectBaseET4_EE5valuegtsrT5_10block_sizeLi0EEmE4typeELm64EEEvT1_T0_T2_T3_,comdat
.Lfunc_end2:
	.size	_ZN4RAJA6policy3hip4impl18forallp_hip_kernelINS1_8hip_execINS_17iteration_mapping6DirectENS_3hip11IndexGlobalILNS_9named_dimE0ELi64ELi0EEENS7_40AvoidDeviceMaxThreadOccupancyConcretizerINS7_34FractionOffsetOccupancyConcretizerINS_8FractionImLm1ELm1EEELln1EEEEELb1EEENS_9Iterators16numeric_iteratorIllPlEEZN8rajaperf4apps13INTSC_HEXRECT17runHipVariantImplILm64EEEvNSM_9VariantIDEEUllE0_lNS_4expt15ForallParamPackIJEEES6_SA_TnNSt9enable_ifIXaasr3std10is_base_ofINS5_10DirectBaseET4_EE5valuegtsrT5_10block_sizeLi0EEmE4typeELm64EEEvT1_T0_T2_T3_, .Lfunc_end2-_ZN4RAJA6policy3hip4impl18forallp_hip_kernelINS1_8hip_execINS_17iteration_mapping6DirectENS_3hip11IndexGlobalILNS_9named_dimE0ELi64ELi0EEENS7_40AvoidDeviceMaxThreadOccupancyConcretizerINS7_34FractionOffsetOccupancyConcretizerINS_8FractionImLm1ELm1EEELln1EEEEELb1EEENS_9Iterators16numeric_iteratorIllPlEEZN8rajaperf4apps13INTSC_HEXRECT17runHipVariantImplILm64EEEvNSM_9VariantIDEEUllE0_lNS_4expt15ForallParamPackIJEEES6_SA_TnNSt9enable_ifIXaasr3std10is_base_ofINS5_10DirectBaseET4_EE5valuegtsrT5_10block_sizeLi0EEmE4typeELm64EEEvT1_T0_T2_T3_
                                        ; -- End function
	.section	.AMDGPU.csdata,"",@progbits
; Kernel info:
; codeLenInByte = 23976
; NumSgprs: 30
; NumVgprs: 112
; ScratchSize: 448
; MemoryBound: 0
; FloatMode: 240
; IeeeMode: 1
; LDSByteSize: 15872 bytes/workgroup (compile time only)
; SGPRBlocks: 3
; VGPRBlocks: 13
; NumSGPRsForWavesPerEU: 30
; NumVGPRsForWavesPerEU: 112
; Occupancy: 4
; WaveLimiterHint : 1
; COMPUTE_PGM_RSRC2:SCRATCH_EN: 1
; COMPUTE_PGM_RSRC2:USER_SGPR: 15
; COMPUTE_PGM_RSRC2:TRAP_HANDLER: 0
; COMPUTE_PGM_RSRC2:TGID_X_EN: 1
; COMPUTE_PGM_RSRC2:TGID_Y_EN: 0
; COMPUTE_PGM_RSRC2:TGID_Z_EN: 0
; COMPUTE_PGM_RSRC2:TIDIG_COMP_CNT: 0
	.text
	.p2alignl 7, 3214868480
	.fill 96, 4, 3214868480
	.type	__hip_cuid_68f2018e58525481,@object ; @__hip_cuid_68f2018e58525481
	.section	.bss,"aw",@nobits
	.globl	__hip_cuid_68f2018e58525481
__hip_cuid_68f2018e58525481:
	.byte	0                               ; 0x0
	.size	__hip_cuid_68f2018e58525481, 1

	.ident	"AMD clang version 19.0.0git (https://github.com/RadeonOpenCompute/llvm-project roc-6.4.0 25133 c7fe45cf4b819c5991fe208aaa96edf142730f1d)"
	.section	".note.GNU-stack","",@progbits
	.addrsig
	.addrsig_sym __hip_cuid_68f2018e58525481
	.amdgpu_metadata
---
amdhsa.kernels:
  - .args:
      - .address_space:  global
        .offset:         0
        .size:           8
        .value_kind:     global_buffer
      - .address_space:  global
        .offset:         8
        .size:           8
        .value_kind:     global_buffer
      - .address_space:  global
        .offset:         16
        .size:           8
        .value_kind:     global_buffer
      - .address_space:  global
        .offset:         24
        .size:           8
        .value_kind:     global_buffer
      - .address_space:  global
        .offset:         32
        .size:           8
        .value_kind:     global_buffer
      - .address_space:  global
        .offset:         40
        .size:           8
        .value_kind:     global_buffer
      - .address_space:  global
        .offset:         48
        .size:           8
        .value_kind:     global_buffer
      - .offset:         56
        .size:           8
        .value_kind:     by_value
      - .address_space:  global
        .offset:         64
        .size:           8
        .value_kind:     global_buffer
    .group_segment_fixed_size: 15872
    .kernarg_segment_align: 8
    .kernarg_segment_size: 72
    .language:       OpenCL C
    .language_version:
      - 2
      - 0
    .max_flat_workgroup_size: 64
    .name:           _ZN8rajaperf4apps17intsc_hexrect_hipILm64EEEvPdS2_S2_PiPcS3_S3_lS2_
    .private_segment_fixed_size: 448
    .sgpr_count:     24
    .sgpr_spill_count: 0
    .symbol:         _ZN8rajaperf4apps17intsc_hexrect_hipILm64EEEvPdS2_S2_PiPcS3_S3_lS2_.kd
    .uniform_work_group_size: 1
    .uses_dynamic_stack: false
    .vgpr_count:     111
    .vgpr_spill_count: 0
    .wavefront_size: 32
    .workgroup_processor_mode: 1
  - .args:
      - .offset:         0
        .size:           8
        .value_kind:     by_value
      - .offset:         8
        .size:           8
        .value_kind:     by_value
      - .offset:         16
        .size:           72
        .value_kind:     by_value
    .group_segment_fixed_size: 15872
    .kernarg_segment_align: 8
    .kernarg_segment_size: 88
    .language:       OpenCL C
    .language_version:
      - 2
      - 0
    .max_flat_workgroup_size: 64
    .name:           _ZN8rajaperf17lambda_hip_forallILm64EZNS_4apps13INTSC_HEXRECT17runHipVariantImplILm64EEEvNS_9VariantIDEEUllE_EEvllT0_
    .private_segment_fixed_size: 448
    .sgpr_count:     30
    .sgpr_spill_count: 0
    .symbol:         _ZN8rajaperf17lambda_hip_forallILm64EZNS_4apps13INTSC_HEXRECT17runHipVariantImplILm64EEEvNS_9VariantIDEEUllE_EEvllT0_.kd
    .uniform_work_group_size: 1
    .uses_dynamic_stack: false
    .vgpr_count:     112
    .vgpr_spill_count: 0
    .wavefront_size: 32
    .workgroup_processor_mode: 1
  - .args:
      - .offset:         0
        .size:           72
        .value_kind:     by_value
      - .offset:         72
        .size:           8
        .value_kind:     by_value
      - .offset:         80
        .size:           8
        .value_kind:     by_value
      - .offset:         88
        .size:           1
        .value_kind:     by_value
    .group_segment_fixed_size: 15872
    .kernarg_segment_align: 8
    .kernarg_segment_size: 92
    .language:       OpenCL C
    .language_version:
      - 2
      - 0
    .max_flat_workgroup_size: 64
    .name:           _ZN4RAJA6policy3hip4impl18forallp_hip_kernelINS1_8hip_execINS_17iteration_mapping6DirectENS_3hip11IndexGlobalILNS_9named_dimE0ELi64ELi0EEENS7_40AvoidDeviceMaxThreadOccupancyConcretizerINS7_34FractionOffsetOccupancyConcretizerINS_8FractionImLm1ELm1EEELln1EEEEELb1EEENS_9Iterators16numeric_iteratorIllPlEEZN8rajaperf4apps13INTSC_HEXRECT17runHipVariantImplILm64EEEvNSM_9VariantIDEEUllE0_lNS_4expt15ForallParamPackIJEEES6_SA_TnNSt9enable_ifIXaasr3std10is_base_ofINS5_10DirectBaseET4_EE5valuegtsrT5_10block_sizeLi0EEmE4typeELm64EEEvT1_T0_T2_T3_
    .private_segment_fixed_size: 448
    .sgpr_count:     30
    .sgpr_spill_count: 0
    .symbol:         _ZN4RAJA6policy3hip4impl18forallp_hip_kernelINS1_8hip_execINS_17iteration_mapping6DirectENS_3hip11IndexGlobalILNS_9named_dimE0ELi64ELi0EEENS7_40AvoidDeviceMaxThreadOccupancyConcretizerINS7_34FractionOffsetOccupancyConcretizerINS_8FractionImLm1ELm1EEELln1EEEEELb1EEENS_9Iterators16numeric_iteratorIllPlEEZN8rajaperf4apps13INTSC_HEXRECT17runHipVariantImplILm64EEEvNSM_9VariantIDEEUllE0_lNS_4expt15ForallParamPackIJEEES6_SA_TnNSt9enable_ifIXaasr3std10is_base_ofINS5_10DirectBaseET4_EE5valuegtsrT5_10block_sizeLi0EEmE4typeELm64EEEvT1_T0_T2_T3_.kd
    .uniform_work_group_size: 1
    .uses_dynamic_stack: false
    .vgpr_count:     112
    .vgpr_spill_count: 0
    .wavefront_size: 32
    .workgroup_processor_mode: 1
amdhsa.target:   amdgcn-amd-amdhsa--gfx1100
amdhsa.version:
  - 1
  - 2
...

	.end_amdgpu_metadata
